;; amdgpu-corpus repo=ROCm/rocFFT kind=compiled arch=gfx1201 opt=O3
	.text
	.amdgcn_target "amdgcn-amd-amdhsa--gfx1201"
	.amdhsa_code_object_version 6
	.protected	fft_rtc_fwd_len1176_factors_2_2_2_3_7_7_wgs_56_tpt_56_halfLds_sp_ip_CI_sbrr_dirReg ; -- Begin function fft_rtc_fwd_len1176_factors_2_2_2_3_7_7_wgs_56_tpt_56_halfLds_sp_ip_CI_sbrr_dirReg
	.globl	fft_rtc_fwd_len1176_factors_2_2_2_3_7_7_wgs_56_tpt_56_halfLds_sp_ip_CI_sbrr_dirReg
	.p2align	8
	.type	fft_rtc_fwd_len1176_factors_2_2_2_3_7_7_wgs_56_tpt_56_halfLds_sp_ip_CI_sbrr_dirReg,@function
fft_rtc_fwd_len1176_factors_2_2_2_3_7_7_wgs_56_tpt_56_halfLds_sp_ip_CI_sbrr_dirReg: ; @fft_rtc_fwd_len1176_factors_2_2_2_3_7_7_wgs_56_tpt_56_halfLds_sp_ip_CI_sbrr_dirReg
; %bb.0:
	s_clause 0x2
	s_load_b64 s[12:13], s[0:1], 0x18
	s_load_b128 s[4:7], s[0:1], 0x0
	s_load_b64 s[10:11], s[0:1], 0x50
	v_mul_u32_u24_e32 v1, 0x493, v0
	v_mov_b32_e32 v3, 0
	s_delay_alu instid0(VALU_DEP_2) | instskip(NEXT) | instid1(VALU_DEP_1)
	v_lshrrev_b32_e32 v1, 16, v1
	v_add_nc_u32_e32 v5, ttmp9, v1
	v_mov_b32_e32 v1, 0
	v_mov_b32_e32 v2, 0
	;; [unrolled: 1-line block ×3, first 2 shown]
	s_wait_kmcnt 0x0
	s_load_b64 s[8:9], s[12:13], 0x0
	v_cmp_lt_u64_e64 s2, s[6:7], 2
	s_delay_alu instid0(VALU_DEP_1)
	s_and_b32 vcc_lo, exec_lo, s2
	s_cbranch_vccnz .LBB0_8
; %bb.1:
	s_load_b64 s[2:3], s[0:1], 0x10
	v_mov_b32_e32 v1, 0
	v_mov_b32_e32 v2, 0
	s_add_nc_u64 s[14:15], s[12:13], 8
	s_mov_b64 s[16:17], 1
	s_wait_kmcnt 0x0
	s_add_nc_u64 s[18:19], s[2:3], 8
	s_mov_b32 s3, 0
.LBB0_2:                                ; =>This Inner Loop Header: Depth=1
	s_load_b64 s[20:21], s[18:19], 0x0
                                        ; implicit-def: $vgpr7_vgpr8
	s_mov_b32 s2, exec_lo
	s_wait_kmcnt 0x0
	v_or_b32_e32 v4, s21, v6
	s_delay_alu instid0(VALU_DEP_1)
	v_cmpx_ne_u64_e32 0, v[3:4]
	s_wait_alu 0xfffe
	s_xor_b32 s22, exec_lo, s2
	s_cbranch_execz .LBB0_4
; %bb.3:                                ;   in Loop: Header=BB0_2 Depth=1
	s_cvt_f32_u32 s2, s20
	s_cvt_f32_u32 s23, s21
	s_sub_nc_u64 s[26:27], 0, s[20:21]
	s_wait_alu 0xfffe
	s_delay_alu instid0(SALU_CYCLE_1) | instskip(SKIP_1) | instid1(SALU_CYCLE_2)
	s_fmamk_f32 s2, s23, 0x4f800000, s2
	s_wait_alu 0xfffe
	v_s_rcp_f32 s2, s2
	s_delay_alu instid0(TRANS32_DEP_1) | instskip(SKIP_1) | instid1(SALU_CYCLE_2)
	s_mul_f32 s2, s2, 0x5f7ffffc
	s_wait_alu 0xfffe
	s_mul_f32 s23, s2, 0x2f800000
	s_wait_alu 0xfffe
	s_delay_alu instid0(SALU_CYCLE_2) | instskip(SKIP_1) | instid1(SALU_CYCLE_2)
	s_trunc_f32 s23, s23
	s_wait_alu 0xfffe
	s_fmamk_f32 s2, s23, 0xcf800000, s2
	s_cvt_u32_f32 s25, s23
	s_wait_alu 0xfffe
	s_delay_alu instid0(SALU_CYCLE_1) | instskip(SKIP_1) | instid1(SALU_CYCLE_2)
	s_cvt_u32_f32 s24, s2
	s_wait_alu 0xfffe
	s_mul_u64 s[28:29], s[26:27], s[24:25]
	s_wait_alu 0xfffe
	s_mul_hi_u32 s31, s24, s29
	s_mul_i32 s30, s24, s29
	s_mul_hi_u32 s2, s24, s28
	s_mul_i32 s33, s25, s28
	s_wait_alu 0xfffe
	s_add_nc_u64 s[30:31], s[2:3], s[30:31]
	s_mul_hi_u32 s23, s25, s28
	s_mul_hi_u32 s34, s25, s29
	s_add_co_u32 s2, s30, s33
	s_wait_alu 0xfffe
	s_add_co_ci_u32 s2, s31, s23
	s_mul_i32 s28, s25, s29
	s_add_co_ci_u32 s29, s34, 0
	s_wait_alu 0xfffe
	s_add_nc_u64 s[28:29], s[2:3], s[28:29]
	s_wait_alu 0xfffe
	v_add_co_u32 v4, s2, s24, s28
	s_delay_alu instid0(VALU_DEP_1) | instskip(SKIP_1) | instid1(VALU_DEP_1)
	s_cmp_lg_u32 s2, 0
	s_add_co_ci_u32 s25, s25, s29
	v_readfirstlane_b32 s24, v4
	s_wait_alu 0xfffe
	s_delay_alu instid0(VALU_DEP_1)
	s_mul_u64 s[26:27], s[26:27], s[24:25]
	s_wait_alu 0xfffe
	s_mul_hi_u32 s29, s24, s27
	s_mul_i32 s28, s24, s27
	s_mul_hi_u32 s2, s24, s26
	s_mul_i32 s30, s25, s26
	s_wait_alu 0xfffe
	s_add_nc_u64 s[28:29], s[2:3], s[28:29]
	s_mul_hi_u32 s23, s25, s26
	s_mul_hi_u32 s24, s25, s27
	s_wait_alu 0xfffe
	s_add_co_u32 s2, s28, s30
	s_add_co_ci_u32 s2, s29, s23
	s_mul_i32 s26, s25, s27
	s_add_co_ci_u32 s27, s24, 0
	s_wait_alu 0xfffe
	s_add_nc_u64 s[26:27], s[2:3], s[26:27]
	s_wait_alu 0xfffe
	v_add_co_u32 v4, s2, v4, s26
	s_delay_alu instid0(VALU_DEP_1) | instskip(SKIP_1) | instid1(VALU_DEP_1)
	s_cmp_lg_u32 s2, 0
	s_add_co_ci_u32 s2, s25, s27
	v_mul_hi_u32 v13, v5, v4
	s_wait_alu 0xfffe
	v_mad_co_u64_u32 v[7:8], null, v5, s2, 0
	v_mad_co_u64_u32 v[9:10], null, v6, v4, 0
	;; [unrolled: 1-line block ×3, first 2 shown]
	s_delay_alu instid0(VALU_DEP_3) | instskip(SKIP_1) | instid1(VALU_DEP_4)
	v_add_co_u32 v4, vcc_lo, v13, v7
	s_wait_alu 0xfffd
	v_add_co_ci_u32_e32 v7, vcc_lo, 0, v8, vcc_lo
	s_delay_alu instid0(VALU_DEP_2) | instskip(SKIP_1) | instid1(VALU_DEP_2)
	v_add_co_u32 v4, vcc_lo, v4, v9
	s_wait_alu 0xfffd
	v_add_co_ci_u32_e32 v4, vcc_lo, v7, v10, vcc_lo
	s_wait_alu 0xfffd
	v_add_co_ci_u32_e32 v7, vcc_lo, 0, v12, vcc_lo
	s_delay_alu instid0(VALU_DEP_2) | instskip(SKIP_1) | instid1(VALU_DEP_2)
	v_add_co_u32 v4, vcc_lo, v4, v11
	s_wait_alu 0xfffd
	v_add_co_ci_u32_e32 v9, vcc_lo, 0, v7, vcc_lo
	s_delay_alu instid0(VALU_DEP_2) | instskip(SKIP_1) | instid1(VALU_DEP_3)
	v_mul_lo_u32 v10, s21, v4
	v_mad_co_u64_u32 v[7:8], null, s20, v4, 0
	v_mul_lo_u32 v11, s20, v9
	s_delay_alu instid0(VALU_DEP_2) | instskip(NEXT) | instid1(VALU_DEP_2)
	v_sub_co_u32 v7, vcc_lo, v5, v7
	v_add3_u32 v8, v8, v11, v10
	s_delay_alu instid0(VALU_DEP_1) | instskip(SKIP_1) | instid1(VALU_DEP_1)
	v_sub_nc_u32_e32 v10, v6, v8
	s_wait_alu 0xfffd
	v_subrev_co_ci_u32_e64 v10, s2, s21, v10, vcc_lo
	v_add_co_u32 v11, s2, v4, 2
	s_wait_alu 0xf1ff
	v_add_co_ci_u32_e64 v12, s2, 0, v9, s2
	v_sub_co_u32 v13, s2, v7, s20
	v_sub_co_ci_u32_e32 v8, vcc_lo, v6, v8, vcc_lo
	s_wait_alu 0xf1ff
	v_subrev_co_ci_u32_e64 v10, s2, 0, v10, s2
	s_delay_alu instid0(VALU_DEP_3) | instskip(NEXT) | instid1(VALU_DEP_3)
	v_cmp_le_u32_e32 vcc_lo, s20, v13
	v_cmp_eq_u32_e64 s2, s21, v8
	s_wait_alu 0xfffd
	v_cndmask_b32_e64 v13, 0, -1, vcc_lo
	v_cmp_le_u32_e32 vcc_lo, s21, v10
	s_wait_alu 0xfffd
	v_cndmask_b32_e64 v14, 0, -1, vcc_lo
	v_cmp_le_u32_e32 vcc_lo, s20, v7
	;; [unrolled: 3-line block ×3, first 2 shown]
	s_wait_alu 0xfffd
	v_cndmask_b32_e64 v15, 0, -1, vcc_lo
	v_cmp_eq_u32_e32 vcc_lo, s21, v10
	s_wait_alu 0xf1ff
	s_delay_alu instid0(VALU_DEP_2)
	v_cndmask_b32_e64 v7, v15, v7, s2
	s_wait_alu 0xfffd
	v_cndmask_b32_e32 v10, v14, v13, vcc_lo
	v_add_co_u32 v13, vcc_lo, v4, 1
	s_wait_alu 0xfffd
	v_add_co_ci_u32_e32 v14, vcc_lo, 0, v9, vcc_lo
	s_delay_alu instid0(VALU_DEP_3) | instskip(SKIP_2) | instid1(VALU_DEP_3)
	v_cmp_ne_u32_e32 vcc_lo, 0, v10
	s_wait_alu 0xfffd
	v_cndmask_b32_e32 v10, v13, v11, vcc_lo
	v_cndmask_b32_e32 v8, v14, v12, vcc_lo
	v_cmp_ne_u32_e32 vcc_lo, 0, v7
	s_wait_alu 0xfffd
	s_delay_alu instid0(VALU_DEP_2)
	v_dual_cndmask_b32 v7, v4, v10 :: v_dual_cndmask_b32 v8, v9, v8
.LBB0_4:                                ;   in Loop: Header=BB0_2 Depth=1
	s_wait_alu 0xfffe
	s_and_not1_saveexec_b32 s2, s22
	s_cbranch_execz .LBB0_6
; %bb.5:                                ;   in Loop: Header=BB0_2 Depth=1
	v_cvt_f32_u32_e32 v4, s20
	s_sub_co_i32 s22, 0, s20
	s_delay_alu instid0(VALU_DEP_1) | instskip(NEXT) | instid1(TRANS32_DEP_1)
	v_rcp_iflag_f32_e32 v4, v4
	v_mul_f32_e32 v4, 0x4f7ffffe, v4
	s_delay_alu instid0(VALU_DEP_1) | instskip(SKIP_1) | instid1(VALU_DEP_1)
	v_cvt_u32_f32_e32 v4, v4
	s_wait_alu 0xfffe
	v_mul_lo_u32 v7, s22, v4
	s_delay_alu instid0(VALU_DEP_1) | instskip(NEXT) | instid1(VALU_DEP_1)
	v_mul_hi_u32 v7, v4, v7
	v_add_nc_u32_e32 v4, v4, v7
	s_delay_alu instid0(VALU_DEP_1) | instskip(NEXT) | instid1(VALU_DEP_1)
	v_mul_hi_u32 v4, v5, v4
	v_mul_lo_u32 v7, v4, s20
	v_add_nc_u32_e32 v8, 1, v4
	s_delay_alu instid0(VALU_DEP_2) | instskip(NEXT) | instid1(VALU_DEP_1)
	v_sub_nc_u32_e32 v7, v5, v7
	v_subrev_nc_u32_e32 v9, s20, v7
	v_cmp_le_u32_e32 vcc_lo, s20, v7
	s_wait_alu 0xfffd
	s_delay_alu instid0(VALU_DEP_2) | instskip(NEXT) | instid1(VALU_DEP_1)
	v_dual_cndmask_b32 v7, v7, v9 :: v_dual_cndmask_b32 v4, v4, v8
	v_cmp_le_u32_e32 vcc_lo, s20, v7
	s_delay_alu instid0(VALU_DEP_2) | instskip(SKIP_1) | instid1(VALU_DEP_1)
	v_add_nc_u32_e32 v8, 1, v4
	s_wait_alu 0xfffd
	v_dual_cndmask_b32 v7, v4, v8 :: v_dual_mov_b32 v8, v3
.LBB0_6:                                ;   in Loop: Header=BB0_2 Depth=1
	s_wait_alu 0xfffe
	s_or_b32 exec_lo, exec_lo, s2
	s_load_b64 s[22:23], s[14:15], 0x0
	s_delay_alu instid0(VALU_DEP_1)
	v_mul_lo_u32 v4, v8, s20
	v_mul_lo_u32 v11, v7, s21
	v_mad_co_u64_u32 v[9:10], null, v7, s20, 0
	s_add_nc_u64 s[16:17], s[16:17], 1
	s_add_nc_u64 s[14:15], s[14:15], 8
	s_wait_alu 0xfffe
	v_cmp_ge_u64_e64 s2, s[16:17], s[6:7]
	s_add_nc_u64 s[18:19], s[18:19], 8
	s_delay_alu instid0(VALU_DEP_2) | instskip(NEXT) | instid1(VALU_DEP_3)
	v_add3_u32 v4, v10, v11, v4
	v_sub_co_u32 v5, vcc_lo, v5, v9
	s_wait_alu 0xfffd
	s_delay_alu instid0(VALU_DEP_2) | instskip(SKIP_3) | instid1(VALU_DEP_2)
	v_sub_co_ci_u32_e32 v4, vcc_lo, v6, v4, vcc_lo
	s_and_b32 vcc_lo, exec_lo, s2
	s_wait_kmcnt 0x0
	v_mul_lo_u32 v6, s23, v5
	v_mul_lo_u32 v4, s22, v4
	v_mad_co_u64_u32 v[1:2], null, s22, v5, v[1:2]
	s_delay_alu instid0(VALU_DEP_1)
	v_add3_u32 v2, v6, v2, v4
	s_wait_alu 0xfffe
	s_cbranch_vccnz .LBB0_9
; %bb.7:                                ;   in Loop: Header=BB0_2 Depth=1
	v_dual_mov_b32 v5, v7 :: v_dual_mov_b32 v6, v8
	s_branch .LBB0_2
.LBB0_8:
	v_dual_mov_b32 v8, v6 :: v_dual_mov_b32 v7, v5
.LBB0_9:
	s_lshl_b64 s[2:3], s[6:7], 3
	v_mul_hi_u32 v3, 0x4924925, v0
	s_wait_alu 0xfffe
	s_add_nc_u64 s[2:3], s[12:13], s[2:3]
	s_load_b64 s[0:1], s[0:1], 0x20
	s_load_b64 s[2:3], s[2:3], 0x0
                                        ; implicit-def: $vgpr63
                                        ; implicit-def: $vgpr64
                                        ; implicit-def: $vgpr68
                                        ; implicit-def: $vgpr67
                                        ; implicit-def: $vgpr66
                                        ; implicit-def: $vgpr71
                                        ; implicit-def: $vgpr70
	s_delay_alu instid0(VALU_DEP_1) | instskip(NEXT) | instid1(VALU_DEP_1)
	v_mul_u32_u24_e32 v3, 56, v3
	v_sub_nc_u32_e32 v56, v0, v3
	s_delay_alu instid0(VALU_DEP_1)
	v_add_nc_u32_e32 v58, 56, v56
	v_add_nc_u32_e32 v55, 0x70, v56
	;; [unrolled: 1-line block ×4, first 2 shown]
	s_wait_kmcnt 0x0
	v_cmp_gt_u64_e32 vcc_lo, s[0:1], v[7:8]
	v_mul_lo_u32 v3, s2, v8
	v_mul_lo_u32 v4, s3, v7
	v_mad_co_u64_u32 v[0:1], null, s2, v7, v[1:2]
	v_cmp_le_u64_e64 s0, s[0:1], v[7:8]
	v_add_nc_u32_e32 v65, 0x118, v56
	v_add_nc_u32_e32 v61, 0x150, v56
	;; [unrolled: 1-line block ×3, first 2 shown]
	v_or_b32_e32 v69, 0x1c0, v56
	v_add_nc_u32_e32 v60, 0x1f8, v56
	v_add3_u32 v1, v4, v1, v3
                                        ; implicit-def: $sgpr2
	s_and_saveexec_b32 s1, s0
	s_wait_alu 0xfffe
	s_xor_b32 s0, exec_lo, s1
; %bb.10:
	v_add_nc_u32_e32 v63, 56, v56
	v_add_nc_u32_e32 v64, 0x70, v56
	v_add_nc_u32_e32 v68, 0xa8, v56
	v_add_nc_u32_e32 v67, 0xe0, v56
	v_add_nc_u32_e32 v65, 0x118, v56
	v_add_nc_u32_e32 v66, 0x150, v56
	v_add_nc_u32_e32 v71, 0x188, v56
	v_or_b32_e32 v69, 0x1c0, v56
	v_add_nc_u32_e32 v70, 0x1f8, v56
	s_mov_b32 s2, 0
; %bb.11:
	s_wait_alu 0xfffe
	s_or_saveexec_b32 s1, s0
	v_lshlrev_b64_e32 v[0:1], 3, v[0:1]
	v_dual_mov_b32 v28, s2 :: v_dual_mov_b32 v27, s2
                                        ; implicit-def: $vgpr5
                                        ; implicit-def: $vgpr7
                                        ; implicit-def: $vgpr3
                                        ; implicit-def: $vgpr11
                                        ; implicit-def: $vgpr13
                                        ; implicit-def: $vgpr15
                                        ; implicit-def: $vgpr20
                                        ; implicit-def: $vgpr24
                                        ; implicit-def: $vgpr22
                                        ; implicit-def: $vgpr26
                                        ; implicit-def: $vgpr37
                                        ; implicit-def: $vgpr39
                                        ; implicit-def: $vgpr46
                                        ; implicit-def: $vgpr42
                                        ; implicit-def: $vgpr44
                                        ; implicit-def: $vgpr54
                                        ; implicit-def: $vgpr52
                                        ; implicit-def: $vgpr48
                                        ; implicit-def: $vgpr50
                                        ; implicit-def: $vgpr18
                                        ; implicit-def: $vgpr9
	s_wait_alu 0xfffe
	s_xor_b32 exec_lo, exec_lo, s1
	s_cbranch_execz .LBB0_15
; %bb.12:
	v_mad_co_u64_u32 v[2:3], null, s8, v56, 0
	v_mad_co_u64_u32 v[4:5], null, s8, v58, 0
	v_add_nc_u32_e32 v11, 0x24c, v56
	v_add_nc_u32_e32 v15, 0x284, v56
	v_add_co_u32 v16, s0, s10, v0
	s_wait_alu 0xf1ff
	v_add_co_ci_u32_e64 v29, s0, s11, v1, s0
	v_mad_co_u64_u32 v[6:7], null, s8, v11, 0
	v_mad_co_u64_u32 v[8:9], null, s9, v56, v[3:4]
	;; [unrolled: 1-line block ×4, first 2 shown]
	s_delay_alu instid0(VALU_DEP_4) | instskip(NEXT) | instid1(VALU_DEP_4)
	v_mad_co_u64_u32 v[13:14], null, s9, v58, v[5:6]
	v_mov_b32_e32 v3, v8
	v_mad_co_u64_u32 v[7:8], null, s9, v11, v[7:8]
	v_dual_mov_b32 v5, v10 :: v_dual_add_nc_u32 v24, 0x2f4, v56
	v_mad_co_u64_u32 v[11:12], null, s8, v55, 0
	s_delay_alu instid0(VALU_DEP_4)
	v_lshlrev_b64_e32 v[2:3], 3, v[2:3]
	v_mad_co_u64_u32 v[30:31], null, s8, v65, 0
	v_lshlrev_b64_e32 v[6:7], 3, v[6:7]
	v_add_nc_u32_e32 v37, 0x39c, v56
	v_add_nc_u32_e32 v39, 0x3d4, v56
	v_add_co_u32 v2, s0, v16, v2
	v_mov_b32_e32 v8, v12
	v_mad_co_u64_u32 v[14:15], null, s9, v15, v[5:6]
	v_mov_b32_e32 v5, v13
	s_wait_alu 0xf1ff
	v_add_co_ci_u32_e64 v3, s0, v29, v3, s0
	v_add_co_u32 v6, s0, v16, v6
	s_delay_alu instid0(VALU_DEP_3) | instskip(SKIP_4) | instid1(VALU_DEP_4)
	v_lshlrev_b64_e32 v[4:5], 3, v[4:5]
	v_dual_mov_b32 v10, v14 :: v_dual_add_nc_u32 v15, 0x2bc, v56
	s_wait_alu 0xf1ff
	v_add_co_ci_u32_e64 v7, s0, v29, v7, s0
	v_mad_co_u64_u32 v[12:13], null, s9, v55, v[8:9]
	v_add_co_u32 v13, s0, v16, v4
	s_wait_alu 0xf1ff
	v_add_co_ci_u32_e64 v14, s0, v29, v5, s0
	v_lshlrev_b64_e32 v[4:5], 3, v[9:10]
	v_mad_co_u64_u32 v[17:18], null, s8, v15, 0
	v_lshlrev_b64_e32 v[10:11], 3, v[11:12]
	v_mad_co_u64_u32 v[42:43], null, s8, v60, 0
	s_delay_alu instid0(VALU_DEP_4)
	v_add_co_u32 v8, s0, v16, v4
	s_wait_alu 0xf1ff
	v_add_co_ci_u32_e64 v9, s0, v29, v5, s0
	v_dual_mov_b32 v4, v18 :: v_dual_mov_b32 v5, v20
	v_add_co_u32 v10, s0, v16, v10
	s_wait_alu 0xf1ff
	v_add_co_ci_u32_e64 v11, s0, v29, v11, s0
	s_delay_alu instid0(VALU_DEP_3)
	v_mad_co_u64_u32 v[20:21], null, s9, v15, v[4:5]
	v_mad_co_u64_u32 v[21:22], null, s9, v62, v[5:6]
	;; [unrolled: 1-line block ×3, first 2 shown]
	s_clause 0x3
	global_load_b64 v[4:5], v[2:3], off
	global_load_b64 v[6:7], v[6:7], off
	;; [unrolled: 1-line block ×4, first 2 shown]
	s_mov_b32 s2, exec_lo
	v_mov_b32_e32 v18, v20
	v_add_nc_u32_e32 v44, 0x40c, v56
	v_mov_b32_e32 v20, v21
	v_mov_b32_e32 v12, v23
	s_delay_alu instid0(VALU_DEP_4) | instskip(NEXT) | instid1(VALU_DEP_3)
	v_lshlrev_b64_e32 v[13:14], 3, v[17:18]
	v_lshlrev_b64_e32 v[17:18], 3, v[19:20]
	s_delay_alu instid0(VALU_DEP_2)
	v_mad_co_u64_u32 v[19:20], null, s9, v24, v[12:13]
	v_add_nc_u32_e32 v28, 0x32c, v56
	v_mad_co_u64_u32 v[20:21], null, s8, v59, 0
	v_add_co_u32 v12, s0, v16, v13
	s_wait_alu 0xf1ff
	v_add_co_ci_u32_e64 v13, s0, v29, v14, s0
	v_mov_b32_e32 v23, v19
	v_mad_co_u64_u32 v[24:25], null, s8, v28, 0
	v_mov_b32_e32 v14, v21
	v_add_co_u32 v26, s0, v16, v17
	s_wait_alu 0xf1ff
	v_add_co_ci_u32_e64 v27, s0, v29, v18, s0
	v_lshlrev_b64_e32 v[17:18], 3, v[22:23]
	v_mov_b32_e32 v15, v25
	s_delay_alu instid0(VALU_DEP_1)
	v_mad_co_u64_u32 v[21:22], null, s9, v59, v[14:15]
	v_mad_co_u64_u32 v[14:15], null, s9, v28, v[15:16]
	v_add_nc_u32_e32 v28, 0x364, v56
	v_add_co_u32 v22, s0, v16, v17
	s_wait_alu 0xf1ff
	v_add_co_ci_u32_e64 v23, s0, v29, v18, s0
	v_lshlrev_b64_e32 v[20:21], 3, v[20:21]
	v_mov_b32_e32 v25, v14
	v_mad_co_u64_u32 v[32:33], null, s8, v28, 0
	v_mov_b32_e32 v19, v31
	s_clause 0x3
	global_load_b64 v[10:11], v[10:11], off
	global_load_b64 v[17:18], v[12:13], off
	;; [unrolled: 1-line block ×4, first 2 shown]
	v_lshlrev_b64_e32 v[23:24], 3, v[24:25]
	v_mov_b32_e32 v22, v33
	v_mad_co_u64_u32 v[25:26], null, s9, v65, v[19:20]
	v_add_co_u32 v19, s0, v16, v20
	s_delay_alu instid0(VALU_DEP_3) | instskip(SKIP_1) | instid1(VALU_DEP_4)
	v_mad_co_u64_u32 v[26:27], null, s9, v28, v[22:23]
	v_mad_co_u64_u32 v[27:28], null, s8, v61, 0
	v_mov_b32_e32 v31, v25
	s_wait_alu 0xf1ff
	v_add_co_ci_u32_e64 v20, s0, v29, v21, s0
	v_add_co_u32 v21, s0, v16, v23
	s_wait_alu 0xf1ff
	v_add_co_ci_u32_e64 v22, s0, v29, v24, s0
	v_lshlrev_b64_e32 v[24:25], 3, v[30:31]
	v_mov_b32_e32 v33, v26
	v_mov_b32_e32 v23, v28
	s_delay_alu instid0(VALU_DEP_2) | instskip(NEXT) | instid1(VALU_DEP_2)
	v_lshlrev_b64_e32 v[30:31], 3, v[32:33]
	v_mad_co_u64_u32 v[32:33], null, s9, v61, v[23:24]
	v_mad_co_u64_u32 v[33:34], null, s8, v37, 0
	v_add_co_u32 v35, s0, v16, v24
	s_wait_alu 0xf1ff
	v_add_co_ci_u32_e64 v36, s0, v29, v25, s0
	v_add_co_u32 v25, s0, v16, v30
	s_delay_alu instid0(VALU_DEP_4) | instskip(SKIP_3) | instid1(VALU_DEP_3)
	v_mov_b32_e32 v23, v34
	s_wait_alu 0xf1ff
	v_add_co_ci_u32_e64 v26, s0, v29, v31, s0
	v_mad_co_u64_u32 v[30:31], null, s8, v57, 0
	v_mad_co_u64_u32 v[37:38], null, s9, v37, v[23:24]
	s_clause 0x3
	global_load_b64 v[19:20], v[19:20], off
	global_load_b64 v[23:24], v[21:22], off
	;; [unrolled: 1-line block ×4, first 2 shown]
	v_mad_co_u64_u32 v[35:36], null, s8, v39, 0
	v_mov_b32_e32 v28, v32
	v_mad_co_u64_u32 v[31:32], null, s9, v57, v[31:32]
	v_mov_b32_e32 v34, v37
	v_mad_co_u64_u32 v[37:38], null, s8, v69, 0
	s_delay_alu instid0(VALU_DEP_4) | instskip(SKIP_1) | instid1(VALU_DEP_4)
	v_lshlrev_b64_e32 v[27:28], 3, v[27:28]
	v_mov_b32_e32 v32, v36
	v_lshlrev_b64_e32 v[33:34], 3, v[33:34]
	v_lshlrev_b64_e32 v[30:31], 3, v[30:31]
	s_delay_alu instid0(VALU_DEP_4) | instskip(NEXT) | instid1(VALU_DEP_3)
	v_add_co_u32 v27, s0, v16, v27
	v_mad_co_u64_u32 v[39:40], null, s9, v39, v[32:33]
	v_mad_co_u64_u32 v[40:41], null, s8, v44, 0
	s_wait_alu 0xf1ff
	v_add_co_ci_u32_e64 v28, s0, v29, v28, s0
	v_mov_b32_e32 v32, v38
	v_add_co_u32 v33, s0, v16, v33
	v_mov_b32_e32 v36, v39
	s_wait_alu 0xf1ff
	v_add_co_ci_u32_e64 v34, s0, v29, v34, s0
	s_delay_alu instid0(VALU_DEP_3)
	v_mad_co_u64_u32 v[38:39], null, s9, v69, v[32:33]
	v_dual_mov_b32 v32, v41 :: v_dual_add_nc_u32 v39, 0x444, v56
	v_lshlrev_b64_e32 v[35:36], 3, v[35:36]
	v_add_co_u32 v30, s0, v16, v30
	s_wait_alu 0xf1ff
	v_add_co_ci_u32_e64 v31, s0, v29, v31, s0
	v_mad_co_u64_u32 v[44:45], null, s9, v44, v[32:33]
	v_mad_co_u64_u32 v[45:46], null, s8, v39, 0
	v_mov_b32_e32 v32, v43
	v_add_co_u32 v47, s0, v16, v35
	s_wait_alu 0xf1ff
	v_add_co_ci_u32_e64 v48, s0, v29, v36, s0
	v_mov_b32_e32 v41, v44
	v_mad_co_u64_u32 v[43:44], null, s9, v60, v[32:33]
	v_mov_b32_e32 v32, v46
	v_lshlrev_b64_e32 v[35:36], 3, v[37:38]
	s_delay_alu instid0(VALU_DEP_2) | instskip(SKIP_1) | instid1(VALU_DEP_3)
	v_mad_co_u64_u32 v[37:38], null, s9, v39, v[32:33]
	v_lshlrev_b64_e32 v[38:39], 3, v[40:41]
	v_add_co_u32 v40, s0, v16, v35
	s_wait_alu 0xf1ff
	s_delay_alu instid0(VALU_DEP_4)
	v_add_co_ci_u32_e64 v41, s0, v29, v36, s0
	v_lshlrev_b64_e32 v[35:36], 3, v[42:43]
	v_mov_b32_e32 v46, v37
	v_add_co_u32 v43, s0, v16, v38
	s_wait_alu 0xf1ff
	v_add_co_ci_u32_e64 v44, s0, v29, v39, s0
	s_delay_alu instid0(VALU_DEP_3) | instskip(SKIP_3) | instid1(VALU_DEP_3)
	v_lshlrev_b64_e32 v[37:38], 3, v[45:46]
	v_add_co_u32 v51, s0, v16, v35
	s_wait_alu 0xf1ff
	v_add_co_ci_u32_e64 v52, s0, v29, v36, s0
	v_add_co_u32 v53, s0, v16, v37
	s_wait_alu 0xf1ff
	v_add_co_ci_u32_e64 v54, s0, v29, v38, s0
	s_clause 0x7
	global_load_b64 v[36:37], v[27:28], off
	global_load_b64 v[49:50], v[33:34], off
	;; [unrolled: 1-line block ×8, first 2 shown]
	v_dual_mov_b32 v27, 0 :: v_dual_mov_b32 v28, 0
                                        ; implicit-def: $vgpr53
	v_cmpx_gt_u32_e32 28, v56
	s_cbranch_execz .LBB0_14
; %bb.13:
	v_add_nc_u32_e32 v32, 0x230, v56
	v_add_nc_u32_e32 v34, 0x47c, v56
	s_delay_alu instid0(VALU_DEP_2) | instskip(NEXT) | instid1(VALU_DEP_2)
	v_mad_co_u64_u32 v[27:28], null, s8, v32, 0
	v_mad_co_u64_u32 v[30:31], null, s8, v34, 0
	s_delay_alu instid0(VALU_DEP_2) | instskip(NEXT) | instid1(VALU_DEP_1)
	v_mad_co_u64_u32 v[32:33], null, s9, v32, v[28:29]
	v_mad_co_u64_u32 v[33:34], null, s9, v34, v[31:32]
	v_mov_b32_e32 v28, v32
	s_delay_alu instid0(VALU_DEP_1) | instskip(NEXT) | instid1(VALU_DEP_3)
	v_lshlrev_b64_e32 v[27:28], 3, v[27:28]
	v_mov_b32_e32 v31, v33
	s_delay_alu instid0(VALU_DEP_2) | instskip(NEXT) | instid1(VALU_DEP_2)
	v_add_co_u32 v27, s0, v16, v27
	v_lshlrev_b64_e32 v[30:31], 3, v[30:31]
	s_wait_alu 0xf1ff
	s_delay_alu instid0(VALU_DEP_4) | instskip(NEXT) | instid1(VALU_DEP_2)
	v_add_co_ci_u32_e64 v28, s0, v29, v28, s0
	v_add_co_u32 v30, s0, v16, v30
	s_wait_alu 0xf1ff
	s_delay_alu instid0(VALU_DEP_3)
	v_add_co_ci_u32_e64 v31, s0, v29, v31, s0
	s_clause 0x1
	global_load_b64 v[27:28], v[27:28], off
	global_load_b64 v[53:54], v[30:31], off
.LBB0_14:
	s_wait_alu 0xfffe
	s_or_b32 exec_lo, exec_lo, s2
	v_dual_mov_b32 v70, v60 :: v_dual_mov_b32 v71, v57
	v_dual_mov_b32 v66, v61 :: v_dual_mov_b32 v67, v59
	;; [unrolled: 1-line block ×3, first 2 shown]
	v_mov_b32_e32 v64, v55
.LBB0_15:
	s_or_b32 exec_lo, exec_lo, s1
	s_wait_loadcnt 0x6
	v_sub_f32_e32 v79, v36, v49
	v_dual_sub_f32 v30, v4, v6 :: v_dual_sub_f32 v75, v19, v23
	v_dual_sub_f32 v32, v2, v8 :: v_dual_sub_f32 v73, v12, v14
	v_sub_f32_e32 v77, v21, v25
	s_delay_alu instid0(VALU_DEP_4)
	v_fma_f32 v78, v36, 2.0, -v79
	s_wait_loadcnt 0x0
	v_dual_sub_f32 v36, v38, v45 :: v_dual_sub_f32 v83, v43, v51
	v_dual_sub_f32 v34, v10, v17 :: v_dual_sub_f32 v81, v41, v47
	v_sub_f32_e32 v17, v27, v53
	v_fma_f32 v29, v4, 2.0, -v30
	v_fma_f32 v31, v2, 2.0, -v32
	;; [unrolled: 1-line block ×3, first 2 shown]
	v_lshl_add_u32 v19, v56, 3, 0
	v_fma_f32 v35, v38, 2.0, -v36
	v_add_nc_u32_e32 v38, 0x230, v56
	v_fma_f32 v76, v21, 2.0, -v77
	v_lshl_add_u32 v21, v63, 3, 0
	v_fma_f32 v33, v10, 2.0, -v34
	v_lshl_add_u32 v14, v64, 3, 0
	;; [unrolled: 2-line block ×3, first 2 shown]
	v_lshl_add_u32 v25, v67, 3, 0
	v_fma_f32 v16, v27, 2.0, -v17
	v_lshl_add_u32 v27, v65, 3, 0
	ds_store_b64 v19, v[29:30]
	ds_store_b64 v21, v[31:32]
	;; [unrolled: 1-line block ×6, first 2 shown]
	v_lshl_add_u32 v47, v66, 3, 0
	v_lshl_add_u32 v53, v71, 3, 0
	;; [unrolled: 1-line block ×4, first 2 shown]
	v_cmp_gt_u32_e64 s0, 28, v56
	v_lshl_add_u32 v72, v38, 3, 0
	v_fma_f32 v80, v41, 2.0, -v81
	v_fma_f32 v82, v43, 2.0, -v83
	ds_store_b64 v47, v[78:79]
	ds_store_b64 v53, v[35:36]
	;; [unrolled: 1-line block ×4, first 2 shown]
	s_and_saveexec_b32 s1, s0
	s_cbranch_execz .LBB0_17
; %bb.16:
	ds_store_b64 v72, v[16:17]
.LBB0_17:
	s_wait_alu 0xfffe
	s_or_b32 exec_lo, exec_lo, s1
	v_lshl_add_u32 v45, v56, 2, 0
	v_lshlrev_b32_e32 v2, 2, v64
	v_lshlrev_b32_e32 v73, 2, v68
	;; [unrolled: 1-line block ×4, first 2 shown]
	v_add_nc_u32_e32 v4, 0x800, v45
	v_lshlrev_b32_e32 v76, 2, v66
	v_lshlrev_b32_e32 v87, 2, v70
	global_wb scope:SCOPE_SE
	s_wait_dscnt 0x0
	s_barrier_signal -1
	s_barrier_wait -1
	global_inv scope:SCOPE_SE
	ds_load_2addr_b32 v[31:32], v4 offset0:76 offset1:132
	ds_load_2addr_b32 v[29:30], v4 offset0:188 offset1:244
	v_add_nc_u32_e32 v4, 0xc00, v45
	v_lshlrev_b32_e32 v85, 2, v71
	v_lshlrev_b32_e32 v86, 2, v69
	v_lshl_add_u32 v43, v63, 2, 0
	v_sub_nc_u32_e32 v8, v14, v2
	v_sub_nc_u32_e32 v10, v23, v73
	;; [unrolled: 1-line block ×5, first 2 shown]
	v_add_nc_u32_e32 v81, 0x1000, v45
	v_sub_nc_u32_e32 v82, v49, v87
	ds_load_2addr_b32 v[33:34], v4 offset0:44 offset1:100
	ds_load_2addr_b32 v[35:36], v4 offset0:156 offset1:212
	v_sub_nc_u32_e32 v74, v53, v85
	v_sub_nc_u32_e32 v77, v51, v86
	ds_load_b32 v4, v45
	ds_load_b32 v6, v43
	;; [unrolled: 1-line block ×8, first 2 shown]
	ds_load_2addr_b32 v[40:41], v81 offset0:12 offset1:68
	ds_load_b32 v81, v77
	ds_load_b32 v82, v82
	s_and_saveexec_b32 s1, s0
	s_cbranch_execz .LBB0_19
; %bb.18:
	ds_load_b32 v16, v45 offset:2240
	ds_load_b32 v17, v45 offset:4592
.LBB0_19:
	s_wait_alu 0xfffe
	s_or_b32 exec_lo, exec_lo, s1
	v_sub_nc_u32_e32 v84, 0, v76
	v_sub_nc_u32_e32 v76, 0, v86
	v_sub_f32_e32 v86, v3, v9
	v_sub_nc_u32_e32 v74, 0, v73
	v_sub_nc_u32_e32 v73, 0, v83
	v_sub_f32_e32 v88, v5, v7
	v_sub_nc_u32_e32 v83, 0, v85
	v_fma_f32 v85, v3, 2.0, -v86
	v_sub_f32_e32 v3, v28, v54
	v_sub_f32_e32 v90, v11, v18
	;; [unrolled: 1-line block ×4, first 2 shown]
	v_sub_nc_u32_e32 v77, 0, v2
	v_sub_nc_u32_e32 v75, 0, v75
	;; [unrolled: 1-line block ×3, first 2 shown]
	v_fma_f32 v87, v5, 2.0, -v88
	v_sub_f32_e32 v96, v22, v26
	v_sub_f32_e32 v98, v37, v50
	;; [unrolled: 1-line block ×5, first 2 shown]
	v_fma_f32 v2, v28, 2.0, -v3
	v_fma_f32 v89, v11, 2.0, -v90
	;; [unrolled: 1-line block ×9, first 2 shown]
	global_wb scope:SCOPE_SE
	s_wait_dscnt 0x0
	s_barrier_signal -1
	s_barrier_wait -1
	global_inv scope:SCOPE_SE
	ds_store_b64 v19, v[87:88]
	ds_store_b64 v21, v[85:86]
	;; [unrolled: 1-line block ×10, first 2 shown]
	s_and_saveexec_b32 s1, s0
	s_cbranch_execz .LBB0_21
; %bb.20:
	ds_store_b64 v72, v[2:3]
.LBB0_21:
	s_wait_alu 0xfffe
	s_or_b32 exec_lo, exec_lo, s1
	v_add_nc_u32_e32 v5, 0x800, v45
	v_add_nc_u32_e32 v9, 0xc00, v45
	;; [unrolled: 1-line block ×5, first 2 shown]
	global_wb scope:SCOPE_SE
	s_wait_dscnt 0x0
	s_barrier_signal -1
	s_barrier_wait -1
	global_inv scope:SCOPE_SE
	ds_load_2addr_b32 v[18:19], v5 offset0:76 offset1:132
	ds_load_2addr_b32 v[20:21], v5 offset0:188 offset1:244
	;; [unrolled: 1-line block ×3, first 2 shown]
	v_add_nc_u32_e32 v46, v27, v73
	v_add_nc_u32_e32 v39, v47, v84
	ds_load_2addr_b32 v[14:15], v9 offset0:156 offset1:212
	v_add_nc_u32_e32 v47, v53, v83
	v_add_nc_u32_e32 v77, v51, v76
	;; [unrolled: 1-line block ×4, first 2 shown]
	ds_load_b32 v92, v45
	ds_load_b32 v87, v43
	;; [unrolled: 1-line block ×8, first 2 shown]
	ds_load_2addr_b32 v[24:25], v5 offset0:12 offset1:68
	ds_load_b32 v85, v77
	ds_load_b32 v86, v42
	v_lshlrev_b32_e32 v76, 1, v56
	v_lshlrev_b32_e32 v75, 1, v63
	;; [unrolled: 1-line block ×10, first 2 shown]
	s_and_saveexec_b32 s1, s0
	s_cbranch_execz .LBB0_23
; %bb.22:
	ds_load_b32 v2, v45 offset:2240
	ds_load_b32 v3, v45 offset:4592
.LBB0_23:
	s_wait_alu 0xfffe
	s_or_b32 exec_lo, exec_lo, s1
	v_and_b32_e32 v70, 1, v56
	s_delay_alu instid0(VALU_DEP_1)
	v_lshlrev_b32_e32 v5, 3, v70
	global_load_b64 v[26:27], v5, s[4:5]
	v_and_or_b32 v5, 0x7c, v76, v70
	v_lshlrev_b32_e32 v48, 1, v38
	global_wb scope:SCOPE_SE
	s_wait_loadcnt_dscnt 0x0
	s_barrier_signal -1
	s_barrier_wait -1
	v_lshl_add_u32 v97, v5, 2, 0
	global_inv scope:SCOPE_SE
	v_mul_f32_e32 v5, v18, v27
	v_and_or_b32 v50, 0x2fc, v54, v70
	v_and_or_b32 v94, 0x7fc, v49, v70
	;; [unrolled: 1-line block ×5, first 2 shown]
	v_lshl_add_u32 v102, v50, 2, 0
	v_mul_f32_e32 v50, v23, v27
	v_and_or_b32 v11, 0x1fc, v73, v70
	v_lshl_add_u32 v106, v94, 2, 0
	v_fma_f32 v5, v31, v26, -v5
	v_mul_f32_e32 v94, v25, v27
	v_and_or_b32 v13, 0x3fc, v72, v70
	v_and_or_b32 v71, 0x3fc, v52, v70
	;; [unrolled: 1-line block ×3, first 2 shown]
	v_sub_f32_e32 v5, v4, v5
	v_lshl_add_u32 v103, v69, 2, 0
	v_mul_f32_e32 v69, v14, v27
	v_mul_f32_e32 v95, v3, v27
	v_lshl_add_u32 v98, v7, 2, 0
	v_mul_f32_e32 v7, v19, v27
	v_lshl_add_u32 v99, v9, 2, 0
	v_fma_f32 v50, v34, v26, -v50
	v_mul_f32_e32 v9, v20, v27
	v_lshl_add_u32 v100, v11, 2, 0
	v_fma_f32 v94, v41, v26, -v94
	v_mul_f32_e32 v11, v21, v27
	v_lshl_add_u32 v101, v13, 2, 0
	v_mul_f32_e32 v13, v22, v27
	v_lshl_add_u32 v104, v71, 2, 0
	v_sub_f32_e32 v94, v82, v94
	v_lshl_add_u32 v105, v93, 2, 0
	v_mul_f32_e32 v71, v15, v27
	v_mul_f32_e32 v93, v24, v27
	v_fma_f32 v69, v35, v26, -v69
	v_fma_f32 v95, v17, v26, -v95
	;; [unrolled: 1-line block ×3, first 2 shown]
	v_sub_f32_e32 v96, v78, v50
	v_fma_f32 v9, v29, v26, -v9
	v_fma_f32 v11, v30, v26, -v11
	;; [unrolled: 1-line block ×5, first 2 shown]
	v_dual_sub_f32 v107, v79, v69 :: v_dual_sub_f32 v50, v16, v95
	v_sub_f32_e32 v7, v6, v7
	v_sub_f32_e32 v9, v8, v9
	;; [unrolled: 1-line block ×6, first 2 shown]
	v_fma_f32 v4, v4, 2.0, -v5
	v_fma_f32 v69, v16, 2.0, -v50
	;; [unrolled: 1-line block ×11, first 2 shown]
	ds_store_2addr_b32 v97, v4, v5 offset1:2
	ds_store_2addr_b32 v98, v6, v7 offset1:2
	;; [unrolled: 1-line block ×10, first 2 shown]
	s_and_saveexec_b32 s1, s0
	s_cbranch_execz .LBB0_25
; %bb.24:
	v_and_or_b32 v4, 0x4fc, v48, v70
	s_delay_alu instid0(VALU_DEP_1)
	v_lshl_add_u32 v4, v4, 2, 0
	ds_store_2addr_b32 v4, v69, v50 offset1:2
.LBB0_25:
	s_wait_alu 0xfffe
	s_or_b32 exec_lo, exec_lo, s1
	v_add_nc_u32_e32 v4, 0x800, v45
	v_add_nc_u32_e32 v5, 0xc00, v45
	;; [unrolled: 1-line block ×3, first 2 shown]
	global_wb scope:SCOPE_SE
	s_wait_dscnt 0x0
	s_barrier_signal -1
	s_barrier_wait -1
	global_inv scope:SCOPE_SE
	ds_load_2addr_b32 v[12:13], v4 offset0:76 offset1:132
	ds_load_2addr_b32 v[10:11], v4 offset0:188 offset1:244
	;; [unrolled: 1-line block ×4, first 2 shown]
	ds_load_b32 v71, v45
	ds_load_b32 v78, v43
	;; [unrolled: 1-line block ×8, first 2 shown]
	ds_load_2addr_b32 v[8:9], v8 offset0:12 offset1:68
	ds_load_b32 v95, v77
	ds_load_b32 v96, v42
	s_and_saveexec_b32 s1, s0
	s_cbranch_execz .LBB0_27
; %bb.26:
	ds_load_b32 v69, v45 offset:2240
	ds_load_b32 v50, v45 offset:4592
.LBB0_27:
	s_wait_alu 0xfffe
	s_or_b32 exec_lo, exec_lo, s1
	v_mul_f32_e32 v29, v29, v27
	v_mul_f32_e32 v16, v31, v27
	global_wb scope:SCOPE_SE
	s_wait_dscnt 0x0
	s_barrier_signal -1
	s_barrier_wait -1
	v_fmac_f32_e32 v29, v20, v26
	v_dual_mul_f32 v31, v32, v27 :: v_dual_fmac_f32 v16, v18, v26
	v_mul_f32_e32 v30, v30, v27
	global_inv scope:SCOPE_SE
	v_mul_f32_e32 v17, v17, v27
	v_fmac_f32_e32 v31, v19, v26
	v_dual_mul_f32 v19, v34, v27 :: v_dual_fmac_f32 v30, v21, v26
	v_dual_mul_f32 v21, v41, v27 :: v_dual_sub_f32 v16, v92, v16
	v_mul_f32_e32 v32, v35, v27
	s_delay_alu instid0(VALU_DEP_3) | instskip(NEXT) | instid1(VALU_DEP_3)
	v_dual_mul_f32 v18, v33, v27 :: v_dual_fmac_f32 v19, v23, v26
	v_dual_fmac_f32 v21, v25, v26 :: v_dual_mul_f32 v20, v40, v27
	v_sub_f32_e32 v23, v89, v30
	s_delay_alu instid0(VALU_DEP_4) | instskip(SKIP_3) | instid1(VALU_DEP_4)
	v_fmac_f32_e32 v32, v14, v26
	v_dual_mul_f32 v14, v36, v27 :: v_dual_fmac_f32 v17, v3, v26
	v_fmac_f32_e32 v18, v22, v26
	v_fmac_f32_e32 v20, v24, v26
	v_sub_f32_e32 v30, v83, v32
	s_delay_alu instid0(VALU_DEP_4)
	v_dual_fmac_f32 v14, v15, v26 :: v_dual_sub_f32 v21, v86, v21
	v_sub_f32_e32 v33, v2, v17
	v_dual_sub_f32 v15, v87, v31 :: v_dual_sub_f32 v22, v88, v29
	v_dual_sub_f32 v19, v91, v19 :: v_dual_sub_f32 v18, v90, v18
	v_fma_f32 v3, v92, 2.0, -v16
	v_sub_f32_e32 v14, v84, v14
	v_sub_f32_e32 v20, v85, v20
	v_fma_f32 v32, v2, 2.0, -v33
	v_fma_f32 v24, v87, 2.0, -v15
	;; [unrolled: 1-line block ×10, first 2 shown]
	ds_store_2addr_b32 v97, v3, v16 offset1:2
	ds_store_2addr_b32 v98, v24, v15 offset1:2
	;; [unrolled: 1-line block ×10, first 2 shown]
	s_and_saveexec_b32 s1, s0
	s_cbranch_execz .LBB0_29
; %bb.28:
	v_and_or_b32 v2, 0x4fc, v48, v70
	s_delay_alu instid0(VALU_DEP_1)
	v_lshl_add_u32 v2, v2, 2, 0
	ds_store_2addr_b32 v2, v32, v33 offset1:2
.LBB0_29:
	s_wait_alu 0xfffe
	s_or_b32 exec_lo, exec_lo, s1
	v_add_nc_u32_e32 v2, 0x800, v45
	v_add_nc_u32_e32 v14, 0xc00, v45
	;; [unrolled: 1-line block ×3, first 2 shown]
	global_wb scope:SCOPE_SE
	s_wait_dscnt 0x0
	s_barrier_signal -1
	s_barrier_wait -1
	global_inv scope:SCOPE_SE
	ds_load_2addr_b32 v[22:23], v2 offset0:76 offset1:132
	ds_load_2addr_b32 v[20:21], v2 offset0:188 offset1:244
	;; [unrolled: 1-line block ×4, first 2 shown]
	ds_load_b32 v24, v45
	ds_load_b32 v25, v43
	;; [unrolled: 1-line block ×8, first 2 shown]
	ds_load_2addr_b32 v[16:17], v16 offset0:12 offset1:68
	ds_load_b32 v41, v77
	ds_load_b32 v70, v42
	s_and_saveexec_b32 s1, s0
	s_cbranch_execz .LBB0_31
; %bb.30:
	ds_load_b32 v32, v45 offset:2240
	ds_load_b32 v33, v45 offset:4592
.LBB0_31:
	s_wait_alu 0xfffe
	s_or_b32 exec_lo, exec_lo, s1
	v_and_b32_e32 v34, 3, v56
	s_delay_alu instid0(VALU_DEP_1)
	v_lshlrev_b32_e32 v18, 3, v34
	v_and_or_b32 v31, 0xf8, v75, v34
	v_and_or_b32 v77, 0x3f8, v52, v34
	global_load_b64 v[18:19], v18, s[4:5] offset:16
	v_lshl_add_u32 v52, v31, 2, 0
	global_wb scope:SCOPE_SE
	s_wait_loadcnt_dscnt 0x0
	s_barrier_signal -1
	s_barrier_wait -1
	global_inv scope:SCOPE_SE
	v_mul_f32_e32 v31, v23, v19
	v_and_or_b32 v73, 0x1f8, v73, v34
	v_and_or_b32 v75, 0x2f8, v54, v34
	v_and_or_b32 v49, 0x7f8, v49, v34
	v_mul_f32_e32 v89, v17, v19
	v_and_or_b32 v30, 0x78, v76, v34
	v_lshl_add_u32 v54, v73, 2, 0
	v_lshl_add_u32 v73, v75, 2, 0
	;; [unrolled: 1-line block ×4, first 2 shown]
	v_mul_f32_e32 v49, v20, v19
	v_fma_f32 v89, v9, v18, -v89
	v_mul_f32_e32 v84, v2, v19
	v_and_or_b32 v74, 0x1f8, v74, v34
	v_and_or_b32 v76, 0x3f8, v53, v34
	;; [unrolled: 1-line block ×3, first 2 shown]
	v_sub_f32_e32 v89, v96, v89
	v_lshl_add_u32 v51, v30, 2, 0
	v_fma_f32 v49, v10, v18, -v49
	v_mul_f32_e32 v30, v22, v19
	v_mul_f32_e32 v86, v14, v19
	v_fma_f32 v84, v6, v18, -v84
	v_mul_f32_e32 v85, v3, v19
	v_lshl_add_u32 v53, v74, 2, 0
	v_lshl_add_u32 v74, v76, 2, 0
	;; [unrolled: 1-line block ×3, first 2 shown]
	v_dual_sub_f32 v84, v81, v84 :: v_dual_sub_f32 v49, v79, v49
	v_fma_f32 v30, v12, v18, -v30
	v_mul_f32_e32 v83, v21, v19
	v_fma_f32 v85, v7, v18, -v85
	v_mul_f32_e32 v88, v16, v19
	v_fma_f32 v86, v4, v18, -v86
	v_mul_f32_e32 v87, v15, v19
	v_fma_f32 v31, v13, v18, -v31
	v_sub_f32_e32 v30, v71, v30
	v_fma_f32 v83, v11, v18, -v83
	v_sub_f32_e32 v86, v93, v86
	v_and_or_b32 v72, 0x3f8, v72, v34
	v_fma_f32 v87, v5, v18, -v87
	v_sub_f32_e32 v85, v82, v85
	v_fma_f32 v88, v8, v18, -v88
	v_sub_f32_e32 v31, v78, v31
	v_sub_f32_e32 v83, v80, v83
	v_lshl_add_u32 v72, v72, 2, 0
	s_delay_alu instid0(VALU_DEP_4)
	v_dual_sub_f32 v87, v94, v87 :: v_dual_sub_f32 v88, v95, v88
	v_fma_f32 v71, v71, 2.0, -v30
	v_fma_f32 v78, v78, 2.0, -v31
	;; [unrolled: 1-line block ×10, first 2 shown]
	ds_store_2addr_b32 v51, v71, v30 offset1:4
	ds_store_2addr_b32 v52, v78, v31 offset1:4
	;; [unrolled: 1-line block ×10, first 2 shown]
	s_and_saveexec_b32 s1, s0
	s_cbranch_execz .LBB0_33
; %bb.32:
	v_mul_f32_e32 v30, v33, v19
	v_and_or_b32 v31, 0x4f8, v48, v34
	s_delay_alu instid0(VALU_DEP_2) | instskip(NEXT) | instid1(VALU_DEP_2)
	v_fma_f32 v30, v50, v18, -v30
	v_lshl_add_u32 v31, v31, 2, 0
	s_delay_alu instid0(VALU_DEP_2) | instskip(NEXT) | instid1(VALU_DEP_1)
	v_sub_f32_e32 v30, v69, v30
	v_fma_f32 v49, v69, 2.0, -v30
	ds_store_2addr_b32 v31, v49, v30 offset1:4
.LBB0_33:
	s_wait_alu 0xfffe
	s_or_b32 exec_lo, exec_lo, s1
	v_mul_f32_e32 v5, v5, v19
	v_mul_f32_e32 v6, v6, v19
	;; [unrolled: 1-line block ×5, first 2 shown]
	v_dual_mul_f32 v10, v10, v19 :: v_dual_fmac_f32 v5, v15, v18
	v_fmac_f32_e32 v6, v2, v18
	v_mul_f32_e32 v2, v7, v19
	v_mul_f32_e32 v7, v8, v19
	v_fmac_f32_e32 v13, v23, v18
	v_fmac_f32_e32 v12, v22, v18
	;; [unrolled: 1-line block ×5, first 2 shown]
	v_dual_mul_f32 v4, v4, v19 :: v_dual_sub_f32 v71, v25, v13
	v_dual_mul_f32 v8, v9, v19 :: v_dual_sub_f32 v69, v24, v12
	v_fmac_f32_e32 v2, v3, v18
	s_delay_alu instid0(VALU_DEP_3) | instskip(NEXT) | instid1(VALU_DEP_3)
	v_dual_fmac_f32 v4, v14, v18 :: v_dual_sub_f32 v79, v27, v11
	v_dual_fmac_f32 v8, v17, v18 :: v_dual_sub_f32 v5, v40, v5
	v_dual_sub_f32 v78, v26, v10 :: v_dual_sub_f32 v87, v41, v7
	v_dual_sub_f32 v80, v29, v6 :: v_dual_add_nc_u32 v21, 0x600, v45
	v_add_nc_u32_e32 v20, 0xa00, v45
	v_add_nc_u32_e32 v22, 0xc00, v45
	v_dual_sub_f32 v86, v35, v2 :: v_dual_add_nc_u32 v23, 0x800, v45
	v_fma_f32 v81, v24, 2.0, -v69
	v_fma_f32 v82, v25, 2.0, -v71
	;; [unrolled: 1-line block ×5, first 2 shown]
	v_sub_f32_e32 v88, v70, v8
	global_wb scope:SCOPE_SE
	s_wait_dscnt 0x0
	s_barrier_signal -1
	s_barrier_wait -1
	global_inv scope:SCOPE_SE
	ds_load_2addr_stride64_b32 v[2:3], v45 offset1:7
	ds_load_2addr_b32 v[6:7], v20 offset0:88 offset1:144
	ds_load_2addr_b32 v[16:17], v22 offset0:72 offset1:128
	ds_load_2addr_b32 v[14:15], v21 offset0:120 offset1:176
	ds_load_2addr_b32 v[10:11], v22 offset0:184 offset1:240
	ds_load_2addr_b32 v[8:9], v23 offset0:104 offset1:160
	v_add_nc_u32_e32 v24, 0x1000, v45
	ds_load_b32 v31, v43
	ds_load_b32 v30, v28
	;; [unrolled: 1-line block ×5, first 2 shown]
	ds_load_2addr_b32 v[12:13], v24 offset0:40 offset1:96
	ds_load_b32 v49, v47
	ds_load_b32 v27, v39
	v_sub_f32_e32 v4, v36, v4
	v_fma_f32 v35, v35, 2.0, -v86
	v_fma_f32 v40, v40, 2.0, -v5
	v_fma_f32 v41, v41, 2.0, -v87
	v_fma_f32 v70, v70, 2.0, -v88
	v_fma_f32 v36, v36, 2.0, -v4
	global_wb scope:SCOPE_SE
	s_wait_dscnt 0x0
	s_barrier_signal -1
	s_barrier_wait -1
	global_inv scope:SCOPE_SE
	ds_store_2addr_b32 v51, v81, v69 offset1:4
	ds_store_2addr_b32 v52, v82, v71 offset1:4
	;; [unrolled: 1-line block ×10, first 2 shown]
	s_and_saveexec_b32 s1, s0
	s_cbranch_execz .LBB0_35
; %bb.34:
	v_mul_f32_e32 v4, v50, v19
	v_and_or_b32 v5, 0x4f8, v48, v34
	s_delay_alu instid0(VALU_DEP_2) | instskip(NEXT) | instid1(VALU_DEP_2)
	v_fmac_f32_e32 v4, v33, v18
	v_lshl_add_u32 v5, v5, 2, 0
	s_delay_alu instid0(VALU_DEP_2) | instskip(NEXT) | instid1(VALU_DEP_1)
	v_sub_f32_e32 v4, v32, v4
	v_fma_f32 v18, v32, 2.0, -v4
	ds_store_2addr_b32 v5, v18, v4 offset1:4
.LBB0_35:
	s_wait_alu 0xfffe
	s_or_b32 exec_lo, exec_lo, s1
	v_and_b32_e32 v48, 7, v56
	global_wb scope:SCOPE_SE
	s_wait_dscnt 0x0
	s_barrier_signal -1
	s_barrier_wait -1
	global_inv scope:SCOPE_SE
	v_lshlrev_b32_e32 v4, 4, v48
	v_lshrrev_b32_e32 v41, 3, v63
	v_lshrrev_b32_e32 v40, 3, v56
	;; [unrolled: 1-line block ×4, first 2 shown]
	global_load_b128 v[50:53], v4, s[4:5] offset:48
	ds_load_2addr_stride64_b32 v[4:5], v45 offset1:7
	ds_load_2addr_b32 v[69:70], v20 offset0:88 offset1:144
	ds_load_2addr_b32 v[71:72], v22 offset0:72 offset1:128
	;; [unrolled: 1-line block ×5, first 2 shown]
	ds_load_b32 v36, v43
	ds_load_b32 v35, v28
	ds_load_b32 v34, v37
	ds_load_b32 v32, v44
	ds_load_b32 v19, v46
	ds_load_2addr_b32 v[79:80], v24 offset0:40 offset1:96
	ds_load_b32 v54, v47
	ds_load_b32 v33, v39
	v_lshrrev_b32_e32 v47, 3, v67
	v_and_b32_e32 v67, 0xff, v56
	v_lshrrev_b32_e32 v46, 3, v68
	v_and_b32_e32 v68, 0xff, v63
	v_mul_lo_u32 v82, v41, 24
	v_lshrrev_b32_e32 v44, 3, v64
	v_mul_lo_u16 v41, 0xab, v67
	v_and_b32_e32 v81, 0xff, v64
	v_mul_lo_u32 v83, v46, 24
	v_mul_u32_u24_e32 v40, 24, v40
	v_mul_lo_u32 v44, v44, 24
	v_lshrrev_b16 v46, 12, v41
	v_mul_lo_u32 v47, v47, 24
	v_mul_lo_u32 v65, v65, 24
	;; [unrolled: 1-line block ×3, first 2 shown]
	v_add_nc_u32_e32 v18, 0x400, v45
	v_or_b32_e32 v83, v83, v48
	global_wb scope:SCOPE_SE
	s_wait_loadcnt_dscnt 0x0
	s_barrier_signal -1
	s_barrier_wait -1
	v_or_b32_e32 v47, v47, v48
	v_or_b32_e32 v65, v65, v48
	v_lshl_add_u32 v90, v83, 2, 0
	global_inv scope:SCOPE_SE
	v_lshl_add_u32 v91, v47, 2, 0
	v_lshl_add_u32 v65, v65, 2, 0
	v_mul_f32_e32 v85, v5, v51
	v_mul_f32_e32 v87, v71, v53
	v_mul_lo_u16 v67, 0xab, v68
	v_mul_f32_e32 v84, v7, v53
	v_mul_lo_u16 v68, 0xab, v81
	v_or_b32_e32 v81, v40, v48
	v_mul_f32_e32 v83, v70, v53
	v_lshrrev_b16 v41, 12, v67
	v_mul_lo_u16 v67, v46, 24
	v_lshrrev_b16 v40, 12, v68
	v_or_b32_e32 v68, v82, v48
	v_or_b32_e32 v82, v44, v48
	;; [unrolled: 1-line block ×3, first 2 shown]
	v_sub_nc_u16 v44, v56, v67
	v_mul_lo_u16 v67, v41, 24
	v_lshl_add_u32 v66, v81, 2, 0
	v_mul_f32_e32 v93, v14, v51
	v_lshl_add_u32 v89, v82, 2, 0
	v_and_b32_e32 v44, 0xff, v44
	v_sub_nc_u16 v67, v63, v67
	v_mul_f32_e32 v82, v49, v51
	v_mul_f32_e32 v88, v16, v53
	v_dual_mul_f32 v92, v73, v51 :: v_dual_mul_f32 v99, v10, v53
	v_mul_u32_u24_e32 v81, 6, v44
	v_and_b32_e32 v47, 0xff, v67
	v_mul_f32_e32 v86, v3, v51
	v_dual_mul_f32 v94, v72, v53 :: v_dual_mul_f32 v97, v15, v51
	s_delay_alu instid0(VALU_DEP_4)
	v_lshlrev_b32_e32 v67, 3, v81
	v_mul_f32_e32 v81, v54, v51
	v_dual_mul_f32 v95, v17, v53 :: v_dual_mul_f32 v96, v74, v51
	v_dual_mul_f32 v98, v75, v53 :: v_dual_mul_f32 v101, v8, v51
	;; [unrolled: 1-line block ×5, first 2 shown]
	v_mul_f32_e32 v106, v79, v53
	v_dual_mul_f32 v108, v69, v51 :: v_dual_mul_f32 v109, v80, v53
	v_mul_f32_e32 v51, v6, v51
	v_dual_mul_f32 v53, v13, v53 :: v_dual_fmac_f32 v82, v54, v50
	v_fma_f32 v49, v49, v50, -v81
	v_fma_f32 v7, v7, v52, -v83
	v_dual_fmac_f32 v84, v70, v52 :: v_dual_fmac_f32 v93, v73, v50
	v_fma_f32 v3, v3, v50, -v85
	v_dual_fmac_f32 v86, v5, v50 :: v_dual_fmac_f32 v95, v72, v52
	;; [unrolled: 2-line block ×3, first 2 shown]
	v_fma_f32 v14, v14, v50, -v92
	v_fma_f32 v16, v17, v52, -v94
	v_fmac_f32_e32 v99, v75, v52
	v_fma_f32 v8, v8, v50, -v100
	v_fmac_f32_e32 v101, v77, v50
	v_fma_f32 v11, v11, v52, -v102
	v_dual_fmac_f32 v103, v76, v52 :: v_dual_add_f32 v70, v31, v3
	v_fma_f32 v9, v9, v50, -v104
	v_dual_fmac_f32 v105, v78, v50 :: v_dual_add_f32 v78, v35, v93
	;; [unrolled: 2-line block ×3, first 2 shown]
	v_fma_f32 v6, v6, v50, -v108
	v_fma_f32 v13, v13, v52, -v109
	;; [unrolled: 1-line block ×4, first 2 shown]
	v_dual_fmac_f32 v51, v69, v50 :: v_dual_sub_f32 v72, v86, v88
	s_delay_alu instid0(VALU_DEP_3)
	v_dual_fmac_f32 v53, v80, v52 :: v_dual_add_f32 v80, v29, v15
	v_add_f32_e32 v50, v49, v7
	v_sub_f32_e32 v52, v82, v84
	v_dual_add_f32 v69, v82, v84 :: v_dual_sub_f32 v92, v101, v103
	v_dual_add_f32 v17, v2, v49 :: v_dual_sub_f32 v82, v97, v99
	v_dual_sub_f32 v49, v49, v7 :: v_dual_add_f32 v74, v86, v88
	v_dual_add_f32 v71, v3, v5 :: v_dual_add_f32 v76, v14, v16
	v_dual_add_f32 v75, v30, v14 :: v_dual_add_f32 v94, v101, v103
	v_dual_sub_f32 v77, v93, v95 :: v_dual_add_f32 v100, v19, v105
	v_dual_add_f32 v79, v93, v95 :: v_dual_add_f32 v102, v27, v6
	v_dual_add_f32 v83, v34, v97 :: v_dual_sub_f32 v98, v105, v107
	v_dual_add_f32 v85, v97, v99 :: v_dual_add_f32 v104, v6, v13
	v_dual_add_f32 v87, v8, v11 :: v_dual_sub_f32 v6, v6, v13
	v_dual_add_f32 v93, v32, v101 :: v_dual_add_f32 v106, v33, v51
	v_dual_add_f32 v97, v9, v12 :: v_dual_fmac_f32 v2, -0.5, v50
	v_dual_add_f32 v101, v105, v107 :: v_dual_fmac_f32 v4, -0.5, v69
	v_dual_add_f32 v73, v36, v86 :: v_dual_sub_f32 v14, v14, v16
	v_add_f32_e32 v81, v15, v10
	v_sub_f32_e32 v105, v51, v53
	v_dual_add_f32 v51, v51, v53 :: v_dual_fmac_f32 v30, -0.5, v76
	v_dual_sub_f32 v3, v3, v5 :: v_dual_add_f32 v86, v26, v8
	v_dual_sub_f32 v15, v15, v10 :: v_dual_add_f32 v96, v25, v9
	v_dual_sub_f32 v9, v9, v12 :: v_dual_fmac_f32 v36, -0.5, v74
	v_dual_fmac_f32 v31, -0.5, v71 :: v_dual_fmac_f32 v34, -0.5, v85
	v_dual_sub_f32 v8, v8, v11 :: v_dual_add_f32 v5, v70, v5
	v_fmac_f32_e32 v26, -0.5, v87
	v_dual_fmac_f32 v35, -0.5, v79 :: v_dual_fmac_f32 v32, -0.5, v94
	v_dual_add_f32 v70, v93, v103 :: v_dual_fmac_f32 v25, -0.5, v97
	v_fmac_f32_e32 v19, -0.5, v101
	v_fmac_f32_e32 v27, -0.5, v104
	v_dual_add_f32 v7, v17, v7 :: v_dual_add_f32 v16, v75, v16
	v_dual_add_f32 v17, v54, v84 :: v_dual_add_f32 v10, v80, v10
	v_dual_add_f32 v54, v78, v95 :: v_dual_fmac_f32 v29, -0.5, v81
	v_dual_add_f32 v71, v100, v107 :: v_dual_fmamk_f32 v74, v49, 0xbf5db3d7, v4
	v_fmac_f32_e32 v33, -0.5, v51
	v_fmamk_f32 v51, v52, 0x3f5db3d7, v2
	v_dual_add_f32 v11, v86, v11 :: v_dual_fmac_f32 v2, 0xbf5db3d7, v52
	v_fmac_f32_e32 v4, 0x3f5db3d7, v49
	v_lshl_add_u32 v68, v68, 2, 0
	v_dual_add_f32 v50, v73, v88 :: v_dual_fmamk_f32 v49, v72, 0x3f5db3d7, v31
	v_dual_fmac_f32 v31, 0xbf5db3d7, v72 :: v_dual_fmamk_f32 v72, v3, 0xbf5db3d7, v36
	v_dual_add_f32 v13, v102, v13 :: v_dual_fmac_f32 v36, 0x3f5db3d7, v3
	v_dual_add_f32 v73, v106, v53 :: v_dual_fmamk_f32 v76, v15, 0xbf5db3d7, v34
	v_fmamk_f32 v3, v77, 0x3f5db3d7, v30
	v_dual_fmac_f32 v30, 0xbf5db3d7, v77 :: v_dual_fmamk_f32 v75, v14, 0xbf5db3d7, v35
	v_dual_fmac_f32 v35, 0x3f5db3d7, v14 :: v_dual_fmac_f32 v34, 0x3f5db3d7, v15
	v_fmamk_f32 v15, v92, 0x3f5db3d7, v26
	v_fmac_f32_e32 v26, 0xbf5db3d7, v92
	v_dual_fmamk_f32 v77, v8, 0xbf5db3d7, v32 :: v_dual_fmamk_f32 v78, v9, 0xbf5db3d7, v19
	v_fmac_f32_e32 v32, 0x3f5db3d7, v8
	v_fmamk_f32 v8, v98, 0x3f5db3d7, v25
	v_fmac_f32_e32 v25, 0xbf5db3d7, v98
	v_fmac_f32_e32 v19, 0x3f5db3d7, v9
	v_fmamk_f32 v9, v105, 0x3f5db3d7, v27
	v_fmac_f32_e32 v27, 0xbf5db3d7, v105
	v_lshl_add_u32 v48, v48, 2, 0
	v_dual_add_f32 v69, v83, v99 :: v_dual_add_f32 v12, v96, v12
	v_fmamk_f32 v14, v82, 0x3f5db3d7, v29
	v_fmac_f32_e32 v29, 0xbf5db3d7, v82
	v_fmamk_f32 v79, v6, 0xbf5db3d7, v33
	v_fmac_f32_e32 v33, 0x3f5db3d7, v6
	ds_store_2addr_b32 v66, v7, v51 offset1:8
	ds_store_b32 v66, v2 offset:64
	ds_store_2addr_b32 v68, v5, v49 offset1:8
	ds_store_b32 v68, v31 offset:64
	;; [unrolled: 2-line block ×7, first 2 shown]
	global_wb scope:SCOPE_SE
	s_wait_dscnt 0x0
	s_barrier_signal -1
	s_barrier_wait -1
	global_inv scope:SCOPE_SE
	ds_load_2addr_b32 v[2:3], v45 offset1:224
	ds_load_b32 v27, v42
	ds_load_2addr_b32 v[15:16], v23 offset0:104 offset1:160
	ds_load_2addr_b32 v[25:26], v22 offset0:72 offset1:128
	;; [unrolled: 1-line block ×3, first 2 shown]
	ds_load_b32 v6, v43
	ds_load_2addr_b32 v[81:82], v18 offset0:24 offset1:136
	ds_load_2addr_b32 v[83:84], v21 offset0:64 offset1:176
	;; [unrolled: 1-line block ×4, first 2 shown]
	ds_load_b32 v101, v39
	ds_load_b32 v102, v37
	;; [unrolled: 1-line block ×3, first 2 shown]
	global_wb scope:SCOPE_SE
	s_wait_dscnt 0x0
	s_barrier_signal -1
	s_barrier_wait -1
	global_inv scope:SCOPE_SE
	ds_store_2addr_b32 v66, v17, v74 offset1:8
	ds_store_b32 v66, v4 offset:64
	ds_store_2addr_b32 v68, v50, v72 offset1:8
	ds_store_b32 v68, v36 offset:64
	;; [unrolled: 2-line block ×7, first 2 shown]
	global_wb scope:SCOPE_SE
	s_wait_dscnt 0x0
	s_barrier_signal -1
	s_barrier_wait -1
	global_inv scope:SCOPE_SE
	s_clause 0x1
	global_load_b128 v[7:10], v67, s[4:5] offset:176
	global_load_b128 v[11:14], v67, s[4:5] offset:192
	v_mul_lo_u16 v4, v40, 24
	v_mul_u32_u24_e32 v17, 6, v47
	v_and_b32_e32 v40, 0xffff, v40
	s_delay_alu instid0(VALU_DEP_3) | instskip(NEXT) | instid1(VALU_DEP_3)
	v_sub_nc_u16 v4, v64, v4
	v_lshlrev_b32_e32 v17, 3, v17
	s_clause 0x1
	global_load_b128 v[29:32], v67, s[4:5] offset:208
	global_load_b128 v[33:36], v17, s[4:5] offset:176
	v_and_b32_e32 v4, 0xff, v4
	s_clause 0x1
	global_load_b128 v[48:51], v17, s[4:5] offset:192
	global_load_b128 v[65:68], v17, s[4:5] offset:208
	v_mul_u32_u24_e32 v40, 0x2a0, v40
	v_mul_u32_u24_e32 v19, 6, v4
	s_delay_alu instid0(VALU_DEP_1)
	v_lshlrev_b32_e32 v17, 3, v19
	s_clause 0x2
	global_load_b128 v[69:72], v17, s[4:5] offset:176
	global_load_b128 v[73:76], v17, s[4:5] offset:192
	;; [unrolled: 1-line block ×3, first 2 shown]
	v_and_b32_e32 v17, 0xffff, v46
	v_and_b32_e32 v19, 0xffff, v41
	v_lshlrev_b32_e32 v41, 2, v44
	ds_load_b32 v54, v37
	v_lshlrev_b32_e32 v44, 2, v47
	v_mul_u32_u24_e32 v17, 0x2a0, v17
	v_mul_u32_u24_e32 v19, 0x2a0, v19
	s_delay_alu instid0(VALU_DEP_2)
	v_add3_u32 v103, 0, v17, v41
	ds_load_b32 v17, v39
	v_add3_u32 v44, 0, v19, v44
	ds_load_b32 v19, v42
	s_wait_loadcnt_dscnt 0x801
	v_dual_mul_f32 v107, v17, v10 :: v_dual_lshlrev_b32 v4, 2, v4
	v_mul_f32_e32 v106, v54, v8
	v_mul_f32_e32 v8, v102, v8
	;; [unrolled: 1-line block ×3, first 2 shown]
	s_wait_loadcnt_dscnt 0x700
	v_mul_f32_e32 v108, v19, v12
	v_add3_u32 v104, 0, v40, v4
	ds_load_2addr_b32 v[40:41], v23 offset0:104 offset1:160
	ds_load_2addr_b32 v[46:47], v45 offset1:224
	ds_load_2addr_b32 v[89:90], v22 offset0:72 offset1:128
	ds_load_2addr_b32 v[91:92], v22 offset0:184 offset1:240
	ds_load_b32 v4, v43
	ds_load_2addr_b32 v[93:94], v18 offset0:24 offset1:136
	ds_load_2addr_b32 v[95:96], v21 offset0:64 offset1:176
	ds_load_2addr_b32 v[97:98], v20 offset0:88 offset1:144
	ds_load_2addr_b32 v[99:100], v24 offset0:40 offset1:96
	ds_load_b32 v105, v28
	v_mul_f32_e32 v12, v27, v12
	v_fma_f32 v102, v102, v7, -v106
	v_fmac_f32_e32 v8, v54, v7
	v_fma_f32 v54, v101, v9, -v107
	v_fmac_f32_e32 v10, v17, v9
	v_fma_f32 v27, v27, v11, -v108
	s_wait_loadcnt 0x3
	v_dual_fmac_f32 v12, v19, v11 :: v_dual_mul_f32 v7, v26, v66
	v_mul_f32_e32 v9, v87, v68
	global_wb scope:SCOPE_SE
	s_wait_loadcnt_dscnt 0x0
	v_mul_f32_e32 v109, v41, v14
	v_mul_f32_e32 v14, v16, v14
	;; [unrolled: 1-line block ×3, first 2 shown]
	v_dual_mul_f32 v30, v25, v30 :: v_dual_mul_f32 v111, v92, v32
	v_mul_f32_e32 v106, v90, v66
	v_mul_f32_e32 v32, v53, v32
	;; [unrolled: 1-line block ×3, first 2 shown]
	v_dual_mul_f32 v34, v3, v34 :: v_dual_mul_f32 v113, v94, v36
	v_mul_f32_e32 v114, v96, v49
	v_dual_mul_f32 v36, v82, v36 :: v_dual_mul_f32 v49, v84, v49
	v_dual_mul_f32 v115, v97, v51 :: v_dual_mul_f32 v66, v99, v68
	v_mul_f32_e32 v51, v85, v51
	v_mul_f32_e32 v17, v93, v70
	;; [unrolled: 1-line block ×4, first 2 shown]
	v_dual_mul_f32 v72, v83, v72 :: v_dual_mul_f32 v101, v40, v74
	v_dual_mul_f32 v11, v15, v74 :: v_dual_fmac_f32 v14, v41, v13
	v_fma_f32 v16, v16, v13, -v109
	v_dual_mul_f32 v13, v98, v76 :: v_dual_mul_f32 v74, v52, v78
	v_dual_mul_f32 v19, v86, v76 :: v_dual_fmac_f32 v30, v89, v29
	v_dual_mul_f32 v41, v91, v78 :: v_dual_fmac_f32 v32, v92, v31
	v_fma_f32 v25, v25, v29, -v110
	v_fma_f32 v29, v53, v31, -v111
	v_dual_mul_f32 v31, v100, v80 :: v_dual_fmac_f32 v34, v47, v33
	v_dual_mul_f32 v53, v88, v80 :: v_dual_fmac_f32 v36, v94, v35
	v_fma_f32 v3, v3, v33, -v112
	v_fma_f32 v33, v82, v35, -v113
	;; [unrolled: 1-line block ×3, first 2 shown]
	v_dual_fmac_f32 v49, v96, v48 :: v_dual_fmac_f32 v68, v93, v69
	v_dual_fmac_f32 v51, v97, v50 :: v_dual_fmac_f32 v72, v95, v71
	v_fmac_f32_e32 v7, v90, v65
	v_fma_f32 v48, v87, v67, -v66
	v_fmac_f32_e32 v9, v99, v67
	v_fma_f32 v47, v85, v50, -v115
	v_fma_f32 v26, v26, v65, -v106
	;; [unrolled: 1-line block ×5, first 2 shown]
	v_fmac_f32_e32 v11, v40, v73
	v_fma_f32 v13, v86, v75, -v13
	v_dual_fmac_f32 v19, v98, v75 :: v_dual_fmac_f32 v74, v91, v77
	v_fma_f32 v40, v52, v77, -v41
	v_fma_f32 v31, v88, v79, -v31
	v_fmac_f32_e32 v53, v100, v79
	v_dual_add_f32 v41, v102, v29 :: v_dual_add_f32 v52, v8, v32
	v_dual_sub_f32 v29, v102, v29 :: v_dual_sub_f32 v8, v8, v32
	v_add_f32_e32 v32, v54, v25
	v_add_f32_e32 v65, v10, v30
	v_sub_f32_e32 v25, v54, v25
	v_sub_f32_e32 v10, v10, v30
	v_add_f32_e32 v30, v27, v16
	v_add_f32_e32 v54, v12, v14
	v_sub_f32_e32 v16, v16, v27
	v_sub_f32_e32 v12, v14, v12
	v_dual_add_f32 v14, v3, v48 :: v_dual_add_f32 v27, v34, v9
	v_dual_sub_f32 v3, v3, v48 :: v_dual_add_f32 v48, v36, v7
	v_sub_f32_e32 v7, v36, v7
	v_dual_add_f32 v36, v49, v51 :: v_dual_sub_f32 v9, v34, v9
	v_add_f32_e32 v34, v33, v26
	v_dual_sub_f32 v26, v33, v26 :: v_dual_add_f32 v33, v35, v47
	v_dual_add_f32 v66, v72, v74 :: v_dual_sub_f32 v35, v47, v35
	v_sub_f32_e32 v47, v51, v49
	v_add_f32_e32 v49, v17, v31
	v_add_f32_e32 v51, v68, v53
	v_sub_f32_e32 v17, v17, v31
	v_dual_sub_f32 v31, v68, v53 :: v_dual_sub_f32 v70, v65, v52
	v_add_f32_e32 v53, v50, v40
	v_sub_f32_e32 v40, v50, v40
	v_sub_f32_e32 v50, v72, v74
	v_dual_add_f32 v72, v12, v10 :: v_dual_add_f32 v67, v15, v13
	v_add_f32_e32 v68, v11, v19
	v_dual_sub_f32 v13, v13, v15 :: v_dual_sub_f32 v74, v12, v10
	v_sub_f32_e32 v11, v19, v11
	v_dual_add_f32 v15, v32, v41 :: v_dual_sub_f32 v10, v10, v8
	v_dual_add_f32 v19, v65, v52 :: v_dual_add_f32 v76, v48, v27
	v_sub_f32_e32 v69, v32, v41
	v_dual_sub_f32 v41, v41, v30 :: v_dual_sub_f32 v12, v8, v12
	v_sub_f32_e32 v52, v52, v54
	v_sub_f32_e32 v32, v30, v32
	v_dual_sub_f32 v65, v54, v65 :: v_dual_sub_f32 v78, v48, v27
	v_dual_add_f32 v71, v16, v25 :: v_dual_add_f32 v80, v47, v7
	v_dual_sub_f32 v73, v16, v25 :: v_dual_sub_f32 v82, v47, v7
	v_dual_sub_f32 v25, v25, v29 :: v_dual_sub_f32 v48, v36, v48
	v_dual_sub_f32 v16, v29, v16 :: v_dual_add_f32 v75, v34, v14
	v_dual_sub_f32 v77, v34, v14 :: v_dual_add_f32 v8, v72, v8
	v_dual_sub_f32 v14, v14, v33 :: v_dual_sub_f32 v27, v27, v36
	v_sub_f32_e32 v34, v33, v34
	v_add_f32_e32 v79, v35, v26
	v_dual_sub_f32 v81, v35, v26 :: v_dual_add_f32 v84, v66, v51
	v_sub_f32_e32 v35, v3, v35
	v_dual_sub_f32 v47, v9, v47 :: v_dual_add_f32 v88, v11, v50
	v_dual_sub_f32 v7, v7, v9 :: v_dual_sub_f32 v86, v66, v51
	v_dual_add_f32 v83, v53, v49 :: v_dual_sub_f32 v90, v11, v50
	v_dual_sub_f32 v85, v53, v49 :: v_dual_sub_f32 v50, v50, v31
	v_sub_f32_e32 v49, v49, v67
	v_dual_sub_f32 v53, v67, v53 :: v_dual_sub_f32 v66, v68, v66
	v_dual_add_f32 v87, v13, v40 :: v_dual_mul_f32 v72, 0xbf08b237, v74
	v_dual_sub_f32 v89, v13, v40 :: v_dual_mul_f32 v74, 0x3f5ff5aa, v10
	v_dual_sub_f32 v13, v17, v13 :: v_dual_add_f32 v36, v36, v76
	v_dual_add_f32 v15, v30, v15 :: v_dual_mul_f32 v76, 0x3d64c772, v48
	v_add_f32_e32 v29, v71, v29
	v_dual_mul_f32 v30, 0x3f4a47b2, v41 :: v_dual_mul_f32 v41, 0x3f4a47b2, v52
	s_delay_alu instid0(VALU_DEP_3)
	v_add_f32_e32 v2, v2, v15
	v_mul_f32_e32 v52, 0x3d64c772, v32
	v_mul_f32_e32 v71, 0xbf08b237, v73
	v_dual_mul_f32 v73, 0x3f5ff5aa, v25 :: v_dual_sub_f32 v26, v26, v3
	v_sub_f32_e32 v51, v51, v68
	v_dual_sub_f32 v11, v31, v11 :: v_dual_mul_f32 v14, 0x3f4a47b2, v14
	v_dual_sub_f32 v40, v40, v17 :: v_dual_add_f32 v19, v54, v19
	v_dual_mul_f32 v54, 0x3d64c772, v65 :: v_dual_add_f32 v33, v33, v75
	v_add_f32_e32 v3, v79, v3
	v_add_f32_e32 v9, v80, v9
	v_dual_mul_f32 v75, 0x3d64c772, v34 :: v_dual_fmamk_f32 v32, v32, 0x3d64c772, v30
	v_mul_f32_e32 v80, 0xbf08b237, v82
	v_add_f32_e32 v68, v68, v84
	v_dual_add_f32 v31, v88, v31 :: v_dual_mul_f32 v84, 0x3d64c772, v66
	v_dual_mul_f32 v27, 0x3f4a47b2, v27 :: v_dual_add_f32 v6, v6, v33
	v_mul_f32_e32 v88, 0xbf08b237, v90
	v_mul_f32_e32 v90, 0x3f5ff5aa, v50
	v_fma_f32 v52, 0x3f3bfb3b, v69, -v52
	v_fma_f32 v30, 0xbf3bfb3b, v69, -v30
	v_fmamk_f32 v69, v16, 0x3eae86e6, v71
	v_fma_f32 v25, 0x3f5ff5aa, v25, -v71
	v_fma_f32 v16, 0xbeae86e6, v16, -v73
	v_dual_add_f32 v71, v4, v36 :: v_dual_mul_f32 v82, 0x3f5ff5aa, v7
	v_add_f32_e32 v67, v67, v83
	v_dual_add_f32 v17, v87, v17 :: v_dual_fmamk_f32 v4, v34, 0x3d64c772, v14
	v_dual_mul_f32 v83, 0x3d64c772, v53 :: v_dual_fmamk_f32 v34, v48, 0x3d64c772, v27
	v_fma_f32 v54, 0x3f3bfb3b, v70, -v54
	v_fma_f32 v10, 0x3f5ff5aa, v10, -v72
	;; [unrolled: 1-line block ×4, first 2 shown]
	v_dual_add_f32 v75, v105, v68 :: v_dual_fmac_f32 v16, 0x3ee1c552, v29
	s_delay_alu instid0(VALU_DEP_4)
	v_dual_fmac_f32 v69, 0x3ee1c552, v29 :: v_dual_fmac_f32 v10, 0x3ee1c552, v8
	v_fmac_f32_e32 v25, 0x3ee1c552, v29
	v_fmamk_f32 v29, v36, 0xbf955555, v71
	v_fmamk_f32 v65, v65, 0x3d64c772, v41
	v_fma_f32 v41, 0xbf3bfb3b, v70, -v41
	v_fmamk_f32 v70, v12, 0x3eae86e6, v72
	v_fma_f32 v12, 0xbeae86e6, v12, -v74
	v_fma_f32 v72, 0x3f3bfb3b, v78, -v76
	;; [unrolled: 1-line block ×3, first 2 shown]
	s_delay_alu instid0(VALU_DEP_4) | instskip(NEXT) | instid1(VALU_DEP_4)
	v_dual_add_f32 v5, v5, v67 :: v_dual_fmac_f32 v70, 0x3ee1c552, v8
	v_fmac_f32_e32 v12, 0x3ee1c552, v8
	v_fmamk_f32 v8, v33, 0xbf955555, v6
	v_mul_f32_e32 v87, 0xbf08b237, v89
	v_dual_mul_f32 v89, 0x3f5ff5aa, v40 :: v_dual_add_f32 v36, v72, v29
	v_fmamk_f32 v15, v15, 0xbf955555, v2
	v_mul_f32_e32 v79, 0xbf08b237, v81
	s_delay_alu instid0(VALU_DEP_4)
	v_fmamk_f32 v78, v13, 0x3eae86e6, v87
	v_fma_f32 v40, 0x3f5ff5aa, v40, -v87
	v_fma_f32 v13, 0xbeae86e6, v13, -v89
	v_dual_mul_f32 v81, 0x3f5ff5aa, v26 :: v_dual_add_f32 v4, v4, v8
	v_add_f32_e32 v46, v46, v19
	v_fmamk_f32 v74, v47, 0x3eae86e6, v80
	v_fmac_f32_e32 v78, 0x3ee1c552, v17
	v_fmac_f32_e32 v40, 0x3ee1c552, v17
	;; [unrolled: 1-line block ×3, first 2 shown]
	v_add_f32_e32 v17, v32, v15
	v_add_f32_e32 v32, v52, v15
	v_add_f32_e32 v15, v30, v15
	v_fmamk_f32 v73, v35, 0x3eae86e6, v79
	v_fma_f32 v26, 0x3f5ff5aa, v26, -v79
	v_fma_f32 v35, 0xbeae86e6, v35, -v81
	;; [unrolled: 1-line block ×3, first 2 shown]
	v_add_f32_e32 v52, v12, v15
	v_fma_f32 v47, 0xbeae86e6, v47, -v82
	v_fmamk_f32 v19, v19, 0xbf955555, v46
	v_dual_sub_f32 v12, v15, v12 :: v_dual_mul_f32 v51, 0x3f4a47b2, v51
	v_dual_add_f32 v30, v34, v29 :: v_dual_fmac_f32 v73, 0x3ee1c552, v3
	v_fmac_f32_e32 v74, 0x3ee1c552, v9
	v_dual_fmac_f32 v26, 0x3ee1c552, v3 :: v_dual_fmac_f32 v7, 0x3ee1c552, v9
	v_fmac_f32_e32 v35, 0x3ee1c552, v3
	v_fmamk_f32 v3, v67, 0xbf955555, v5
	v_dual_mul_f32 v49, 0x3f4a47b2, v49 :: v_dual_add_f32 v34, v48, v8
	v_fmamk_f32 v66, v66, 0x3d64c772, v51
	v_fma_f32 v77, 0x3f3bfb3b, v86, -v84
	v_fmamk_f32 v79, v11, 0x3eae86e6, v88
	v_fma_f32 v50, 0x3f5ff5aa, v50, -v88
	v_fma_f32 v11, 0xbeae86e6, v11, -v90
	v_fmac_f32_e32 v47, 0x3ee1c552, v9
	v_fmamk_f32 v9, v68, 0xbf955555, v75
	v_add_f32_e32 v33, v54, v19
	v_dual_fmamk_f32 v53, v53, 0x3d64c772, v49 :: v_dual_sub_f32 v54, v32, v10
	v_fma_f32 v76, 0x3f3bfb3b, v85, -v83
	v_fma_f32 v49, 0xbf3bfb3b, v85, -v49
	;; [unrolled: 1-line block ×3, first 2 shown]
	v_fmac_f32_e32 v79, 0x3ee1c552, v31
	v_fmac_f32_e32 v50, 0x3ee1c552, v31
	v_dual_fmac_f32 v11, 0x3ee1c552, v31 :: v_dual_add_f32 v8, v14, v8
	v_add_f32_e32 v14, v27, v29
	v_add_f32_e32 v29, v66, v9
	;; [unrolled: 1-line block ×3, first 2 shown]
	v_sub_f32_e32 v32, v33, v25
	v_dual_add_f32 v31, v65, v19 :: v_dual_sub_f32 v66, v30, v73
	v_add_f32_e32 v48, v77, v9
	v_add_f32_e32 v19, v41, v19
	;; [unrolled: 1-line block ×6, first 2 shown]
	v_dual_add_f32 v65, v25, v33 :: v_dual_add_f32 v68, v26, v36
	v_sub_f32_e32 v26, v36, v26
	v_sub_f32_e32 v36, v9, v13
	;; [unrolled: 1-line block ×3, first 2 shown]
	v_add_f32_e32 v31, v69, v31
	v_add_f32_e32 v69, v40, v48
	v_sub_f32_e32 v40, v48, v40
	v_dual_sub_f32 v53, v19, v16 :: v_dual_add_f32 v48, v13, v9
	v_dual_add_f32 v33, v16, v19 :: v_dual_add_f32 v16, v74, v4
	v_sub_f32_e32 v19, v34, v7
	v_add_f32_e32 v7, v7, v34
	v_dual_add_f32 v34, v35, v14 :: v_dual_add_f32 v49, v70, v17
	v_sub_f32_e32 v15, v17, v70
	v_add_f32_e32 v17, v47, v8
	v_sub_f32_e32 v67, v14, v35
	v_add_f32_e32 v14, v79, v27
	v_sub_f32_e32 v8, v8, v47
	v_dual_sub_f32 v4, v4, v74 :: v_dual_add_f32 v25, v11, v3
	v_sub_f32_e32 v3, v3, v11
	v_sub_f32_e32 v9, v27, v79
	s_barrier_signal -1
	s_barrier_wait -1
	global_inv scope:SCOPE_SE
	v_sub_f32_e32 v47, v41, v50
	v_add_f32_e32 v41, v50, v41
	ds_store_2addr_b32 v103, v2, v49 offset1:24
	ds_store_2addr_b32 v103, v52, v54 offset0:48 offset1:72
	ds_store_2addr_b32 v103, v10, v12 offset0:96 offset1:120
	ds_store_b32 v103, v15 offset:576
	ds_store_2addr_b32 v44, v6, v16 offset1:24
	ds_store_2addr_b32 v44, v17, v19 offset0:48 offset1:72
	ds_store_2addr_b32 v44, v7, v8 offset0:96 offset1:120
	ds_store_b32 v44, v4 offset:576
	;; [unrolled: 4-line block ×3, first 2 shown]
	global_wb scope:SCOPE_SE
	s_wait_dscnt 0x0
	s_barrier_signal -1
	s_barrier_wait -1
	global_inv scope:SCOPE_SE
	ds_load_2addr_b32 v[2:3], v45 offset1:224
	ds_load_b32 v25, v42
	ds_load_2addr_b32 v[14:15], v23 offset0:104 offset1:160
	ds_load_2addr_b32 v[4:5], v22 offset0:72 offset1:128
	;; [unrolled: 1-line block ×3, first 2 shown]
	ds_load_b32 v19, v43
	ds_load_2addr_b32 v[6:7], v18 offset0:24 offset1:136
	ds_load_2addr_b32 v[8:9], v21 offset0:64 offset1:176
	;; [unrolled: 1-line block ×4, first 2 shown]
	ds_load_b32 v21, v39
	ds_load_b32 v22, v37
	;; [unrolled: 1-line block ×3, first 2 shown]
	v_add_f32_e32 v30, v73, v30
	v_sub_f32_e32 v35, v29, v78
	v_add_f32_e32 v27, v78, v29
	global_wb scope:SCOPE_SE
	s_wait_dscnt 0x0
	s_barrier_signal -1
	s_barrier_wait -1
	global_inv scope:SCOPE_SE
	ds_store_2addr_b32 v103, v46, v51 offset1:24
	ds_store_2addr_b32 v103, v53, v65 offset0:48 offset1:72
	ds_store_2addr_b32 v103, v32, v33 offset0:96 offset1:120
	ds_store_b32 v103, v31 offset:576
	ds_store_2addr_b32 v44, v71, v66 offset1:24
	ds_store_2addr_b32 v44, v67, v68 offset0:48 offset1:72
	ds_store_2addr_b32 v44, v26, v34 offset0:96 offset1:120
	ds_store_b32 v44, v30 offset:576
	;; [unrolled: 4-line block ×3, first 2 shown]
	global_wb scope:SCOPE_SE
	s_wait_dscnt 0x0
	s_barrier_signal -1
	s_barrier_wait -1
	global_inv scope:SCOPE_SE
	s_and_saveexec_b32 s0, vcc_lo
	s_cbranch_execz .LBB0_37
; %bb.36:
	v_mul_u32_u24_e32 v23, 6, v56
	v_mad_co_u64_u32 v[40:41], null, s8, v56, 0
	v_add_nc_u32_e32 v54, 0x1000, v45
	v_add_nc_u32_e32 v95, 0x600, v45
	s_delay_alu instid0(VALU_DEP_4)
	v_dual_mov_b32 v24, 0 :: v_dual_lshlrev_b32 v23, 3, v23
	v_mad_co_u64_u32 v[86:87], null, s8, v61, 0
	v_mad_co_u64_u32 v[90:91], null, s8, v60, 0
	s_clause 0x2
	global_load_b128 v[29:32], v23, s[4:5] offset:1328
	global_load_b128 v[33:36], v23, s[4:5] offset:1360
	;; [unrolled: 1-line block ×3, first 2 shown]
	v_mul_i32_i24_e32 v23, 6, v64
	v_add_nc_u32_e32 v88, 0xc00, v45
	s_delay_alu instid0(VALU_DEP_2) | instskip(SKIP_2) | instid1(VALU_DEP_2)
	v_lshlrev_b64_e32 v[26:27], 3, v[23:24]
	v_mul_i32_i24_e32 v23, 6, v63
	v_add_nc_u32_e32 v63, 0x800, v45
	v_lshlrev_b64_e32 v[23:24], 3, v[23:24]
	s_delay_alu instid0(VALU_DEP_4)
	v_add_co_u32 v26, vcc_lo, s4, v26
	s_wait_alu 0xfffd
	v_add_co_ci_u32_e32 v27, vcc_lo, s5, v27, vcc_lo
	s_clause 0x2
	global_load_b128 v[50:53], v[26:27], off offset:1328
	global_load_b128 v[64:67], v[26:27], off offset:1360
	global_load_b128 v[68:71], v[26:27], off offset:1344
	v_add_co_u32 v23, vcc_lo, s4, v23
	s_wait_alu 0xfffd
	v_add_co_ci_u32_e32 v24, vcc_lo, s5, v24, vcc_lo
	s_clause 0x2
	global_load_b128 v[72:75], v[23:24], off offset:1328
	global_load_b128 v[76:79], v[23:24], off offset:1360
	;; [unrolled: 1-line block ×3, first 2 shown]
	ds_load_2addr_b32 v[23:24], v18 offset0:24 offset1:136
	v_mov_b32_e32 v18, v41
	ds_load_2addr_b32 v[26:27], v45 offset1:224
	ds_load_b32 v37, v37
	ds_load_b32 v96, v42
	;; [unrolled: 1-line block ×3, first 2 shown]
	v_add_nc_u32_e32 v94, 0xa00, v45
	v_mad_co_u64_u32 v[44:45], null, s8, v62, 0
	v_mad_co_u64_u32 v[41:42], null, s9, v56, v[18:19]
	ds_load_b32 v98, v28
	ds_load_b32 v99, v43
	ds_load_2addr_b32 v[42:43], v63 offset0:104 offset1:160
	ds_load_2addr_b32 v[84:85], v88 offset0:184 offset1:240
	v_mov_b32_e32 v18, v87
	v_add_co_u32 v0, vcc_lo, s10, v0
	v_mov_b32_e32 v28, v45
	v_lshlrev_b64_e32 v[39:40], 3, v[40:41]
	s_wait_alu 0xfffd
	v_add_co_ci_u32_e32 v1, vcc_lo, s11, v1, vcc_lo
	s_delay_alu instid0(VALU_DEP_2) | instskip(SKIP_1) | instid1(VALU_DEP_2)
	v_add_co_u32 v39, vcc_lo, v0, v39
	s_wait_alu 0xfffd
	v_add_co_ci_u32_e32 v40, vcc_lo, v1, v40, vcc_lo
	s_wait_loadcnt 0x8
	v_mad_co_u64_u32 v[62:63], null, s9, v62, v[28:29]
	s_wait_loadcnt_dscnt 0x700
	v_mul_f32_e32 v41, v36, v85
	s_wait_loadcnt 0x6
	v_mul_f32_e32 v87, v47, v96
	v_dual_mul_f32 v85, v35, v85 :: v_dual_mul_f32 v96, v46, v96
	v_mul_f32_e32 v28, v30, v37
	v_mov_b32_e32 v45, v62
	s_delay_alu instid0(VALU_DEP_3)
	v_fmac_f32_e32 v85, v17, v36
	ds_load_2addr_b32 v[92:93], v54 offset0:40 offset1:96
	v_mul_f32_e32 v54, v49, v43
	v_mul_f32_e32 v43, v48, v43
	ds_load_2addr_b32 v[88:89], v88 offset0:72 offset1:128
	ds_load_2addr_b32 v[62:63], v94 offset0:88 offset1:144
	;; [unrolled: 1-line block ×3, first 2 shown]
	v_fma_f32 v28, v22, v29, -v28
	v_dual_fmac_f32 v96, v25, v47 :: v_dual_fmac_f32 v43, v15, v49
	v_lshlrev_b64_e32 v[44:45], 3, v[44:45]
	s_wait_loadcnt 0x4
	v_mul_f32_e32 v36, v64, v84
	s_wait_dscnt 0x2
	s_delay_alu instid0(VALU_DEP_1)
	v_dual_fmac_f32 v36, v16, v65 :: v_dual_mul_f32 v101, v34, v88
	v_mul_f32_e32 v88, v33, v88
	v_mul_f32_e32 v37, v29, v37
	v_fma_f32 v29, v17, v35, -v41
	v_fma_f32 v35, v15, v48, -v54
	;; [unrolled: 1-line block ×3, first 2 shown]
	v_fmac_f32_e32 v88, v4, v34
	v_dual_mul_f32 v100, v32, v97 :: v_dual_fmac_f32 v37, v22, v30
	v_mul_f32_e32 v97, v31, v97
	v_fma_f32 v33, v4, v33, -v101
	v_mul_f32_e32 v4, v51, v23
	s_delay_alu instid0(VALU_DEP_4)
	v_fma_f32 v31, v21, v31, -v100
	s_wait_loadcnt_dscnt 0x301
	v_dual_mul_f32 v17, v71, v63 :: v_dual_mul_f32 v30, v66, v93
	v_fmac_f32_e32 v97, v21, v32
	v_dual_mul_f32 v21, v69, v42 :: v_dual_mul_f32 v34, v70, v63
	v_dual_mul_f32 v25, v65, v84 :: v_dual_mul_f32 v32, v68, v42
	s_wait_dscnt 0x0
	v_dual_mul_f32 v23, v50, v23 :: v_dual_mul_f32 v42, v52, v94
	v_sub_f32_e32 v47, v35, v41
	v_dual_mul_f32 v15, v67, v93 :: v_dual_mul_f32 v22, v53, v94
	v_dual_sub_f32 v46, v28, v29 :: v_dual_add_f32 v63, v97, v88
	v_sub_f32_e32 v48, v31, v33
	v_dual_add_f32 v49, v37, v85 :: v_dual_add_f32 v54, v43, v96
	v_add_f32_e32 v28, v28, v29
	v_dual_add_f32 v29, v35, v41 :: v_dual_fmac_f32 v30, v13, v67
	v_add_f32_e32 v31, v31, v33
	v_dual_sub_f32 v33, v37, v85 :: v_dual_fmac_f32 v34, v11, v71
	v_sub_f32_e32 v35, v43, v96
	v_sub_f32_e32 v37, v97, v88
	v_fma_f32 v17, v11, v70, -v17
	v_fma_f32 v21, v14, v68, -v21
	v_dual_fmac_f32 v23, v6, v51 :: v_dual_fmac_f32 v42, v8, v53
	v_fma_f32 v4, v6, v50, -v4
	v_fma_f32 v15, v13, v66, -v15
	s_wait_loadcnt 0x0
	v_mul_f32_e32 v13, v81, v95
	v_fma_f32 v22, v8, v52, -v22
	v_fma_f32 v25, v16, v64, -v25
	v_dual_fmac_f32 v32, v14, v69 :: v_dual_mul_f32 v11, v83, v62
	v_mul_f32_e32 v6, v73, v27
	v_dual_mul_f32 v8, v79, v92 :: v_dual_mul_f32 v27, v72, v27
	v_dual_mul_f32 v14, v75, v24 :: v_dual_mul_f32 v43, v80, v95
	;; [unrolled: 1-line block ×4, first 2 shown]
	v_dual_mul_f32 v24, v74, v24 :: v_dual_add_f32 v65, v49, v63
	v_dual_sub_f32 v52, v46, v47 :: v_dual_sub_f32 v53, v47, v48
	v_dual_add_f32 v47, v47, v48 :: v_dual_sub_f32 v62, v49, v54
	v_sub_f32_e32 v64, v54, v63
	v_dual_sub_f32 v66, v28, v29 :: v_dual_sub_f32 v67, v29, v31
	v_dual_add_f32 v68, v28, v31 :: v_dual_sub_f32 v49, v63, v49
	v_dual_sub_f32 v69, v33, v35 :: v_dual_sub_f32 v70, v35, v37
	v_dual_sub_f32 v63, v17, v21 :: v_dual_add_f32 v84, v23, v30
	v_add_f32_e32 v87, v42, v36
	v_dual_add_f32 v35, v35, v37 :: v_dual_sub_f32 v48, v48, v46
	v_dual_sub_f32 v28, v31, v28 :: v_dual_sub_f32 v31, v37, v33
	v_sub_f32_e32 v37, v4, v15
	v_dual_sub_f32 v71, v22, v25 :: v_dual_add_f32 v4, v4, v15
	v_dual_add_f32 v85, v34, v32 :: v_dual_fmac_f32 v24, v7, v75
	v_add_f32_e32 v15, v17, v21
	v_add_f32_e32 v17, v22, v25
	v_dual_sub_f32 v21, v23, v30 :: v_dual_fmac_f32 v50, v10, v83
	v_sub_f32_e32 v22, v34, v32
	v_dual_sub_f32 v23, v42, v36 :: v_dual_mul_f32 v32, 0xbf08b237, v70
	v_fma_f32 v11, v10, v82, -v11
	v_fma_f32 v13, v9, v80, -v13
	;; [unrolled: 1-line block ×4, first 2 shown]
	v_fmac_f32_e32 v41, v12, v79
	v_dual_fmac_f32 v27, v3, v73 :: v_dual_mul_f32 v34, 0x3f5ff5aa, v48
	v_fmac_f32_e32 v51, v5, v77
	v_fma_f32 v6, v3, v72, -v6
	v_fma_f32 v8, v12, v78, -v8
	v_dual_fmac_f32 v43, v9, v81 :: v_dual_sub_f32 v42, v63, v71
	v_add_f32_e32 v12, v54, v65
	v_mul_f32_e32 v30, 0x3d64c772, v67
	v_dual_mul_f32 v9, 0x3f4a47b2, v62 :: v_dual_add_f32 v54, v84, v87
	v_add_f32_e32 v29, v29, v68
	v_dual_mul_f32 v5, 0xbf08b237, v53 :: v_dual_sub_f32 v36, v37, v63
	v_dual_add_f32 v7, v46, v47 :: v_dual_mul_f32 v10, 0x3d64c772, v64
	v_dual_sub_f32 v64, v15, v17 :: v_dual_mul_f32 v25, 0x3f4a47b2, v66
	v_sub_f32_e32 v68, v22, v23
	v_dual_add_f32 v33, v33, v35 :: v_dual_sub_f32 v70, v71, v37
	v_dual_mul_f32 v35, 0x3f5ff5aa, v31 :: v_dual_sub_f32 v72, v6, v8
	v_dual_add_f32 v46, v63, v71 :: v_dual_sub_f32 v47, v84, v85
	v_dual_add_f32 v6, v6, v8 :: v_dual_sub_f32 v53, v85, v87
	v_dual_sub_f32 v63, v4, v15 :: v_dual_add_f32 v74, v27, v41
	v_add_f32_e32 v65, v4, v17
	v_dual_sub_f32 v67, v21, v22 :: v_dual_add_f32 v76, v24, v51
	v_dual_add_f32 v22, v22, v23 :: v_dual_sub_f32 v17, v17, v4
	v_add_f32_e32 v8, v11, v13
	v_sub_f32_e32 v23, v23, v21
	v_dual_sub_f32 v4, v11, v13 :: v_dual_sub_f32 v73, v14, v16
	v_sub_f32_e32 v71, v87, v84
	v_add_f32_e32 v75, v50, v43
	v_add_f32_e32 v11, v14, v16
	v_dual_sub_f32 v13, v27, v41 :: v_dual_sub_f32 v14, v50, v43
	v_dual_sub_f32 v16, v24, v51 :: v_dual_add_f32 v3, v26, v12
	v_dual_add_f32 v2, v2, v29 :: v_dual_fmamk_f32 v41, v69, 0x3eae86e6, v32
	v_dual_add_f32 v43, v85, v54 :: v_dual_fmamk_f32 v24, v52, 0x3eae86e6, v5
	v_fmamk_f32 v27, v62, 0x3f4a47b2, v10
	v_fmamk_f32 v26, v66, 0x3f4a47b2, v30
	v_fma_f32 v34, 0xbeae86e6, v52, -v34
	v_fma_f32 v9, 0xbf3bfb3b, v49, -v9
	;; [unrolled: 1-line block ×8, first 2 shown]
	v_mul_f32_e32 v30, 0xbf08b237, v42
	v_add_f32_e32 v32, v37, v46
	v_mul_f32_e32 v46, 0x3f4a47b2, v63
	v_dual_mul_f32 v37, 0x3f4a47b2, v47 :: v_dual_sub_f32 v52, v4, v73
	v_mul_f32_e32 v42, 0x3d64c772, v53
	v_dual_mul_f32 v48, 0x3d64c772, v64 :: v_dual_add_f32 v15, v15, v65
	v_mul_f32_e32 v50, 0x3f5ff5aa, v23
	v_dual_mul_f32 v49, 0xbf08b237, v68 :: v_dual_sub_f32 v54, v74, v75
	v_dual_add_f32 v21, v21, v22 :: v_dual_sub_f32 v62, v75, v76
	v_dual_mul_f32 v22, 0x3f5ff5aa, v70 :: v_dual_add_f32 v53, v4, v73
	v_add_f32_e32 v64, v74, v76
	v_dual_sub_f32 v65, v6, v8 :: v_dual_sub_f32 v68, v8, v11
	v_dual_add_f32 v69, v6, v11 :: v_dual_sub_f32 v74, v76, v74
	v_dual_sub_f32 v77, v13, v14 :: v_dual_sub_f32 v78, v14, v16
	v_dual_add_f32 v14, v14, v16 :: v_dual_sub_f32 v11, v11, v6
	v_dual_sub_f32 v73, v73, v72 :: v_dual_sub_f32 v16, v16, v13
	v_dual_fmamk_f32 v6, v12, 0xbf955555, v3 :: v_dual_add_f32 v5, v98, v43
	v_dual_fmamk_f32 v12, v29, 0xbf955555, v2 :: v_dual_sub_f32 v51, v72, v4
	v_dual_fmac_f32 v24, 0x3ee1c552, v7 :: v_dual_fmac_f32 v41, 0x3ee1c552, v33
	v_fmac_f32_e32 v34, 0x3ee1c552, v7
	v_dual_fmac_f32 v66, 0x3ee1c552, v33 :: v_dual_fmac_f32 v35, 0x3ee1c552, v7
	v_dual_fmac_f32 v31, 0x3ee1c552, v33 :: v_dual_add_f32 v4, v20, v15
	v_fmamk_f32 v33, v36, 0x3eae86e6, v30
	v_fmamk_f32 v29, v47, 0x3f4a47b2, v42
	v_dual_fmamk_f32 v47, v63, 0x3f4a47b2, v48 :: v_dual_mul_f32 v20, 0x3f4a47b2, v54
	v_fmamk_f32 v63, v67, 0x3eae86e6, v49
	v_fma_f32 v36, 0xbeae86e6, v36, -v22
	v_fma_f32 v22, 0xbf3bfb3b, v71, -v37
	;; [unrolled: 1-line block ×6, first 2 shown]
	v_mul_f32_e32 v17, 0xbf08b237, v52
	v_add_f32_e32 v52, v75, v64
	v_add_f32_e32 v48, v72, v53
	v_add_f32_e32 v64, v8, v69
	v_mul_f32_e32 v8, 0xbf08b237, v78
	v_add_f32_e32 v67, v13, v14
	v_dual_mul_f32 v13, 0x3f5ff5aa, v73 :: v_dual_mul_f32 v14, 0x3f5ff5aa, v16
	v_add_f32_e32 v27, v27, v6
	v_dual_mul_f32 v50, 0x3d64c772, v62 :: v_dual_add_f32 v69, v25, v12
	v_dual_mul_f32 v53, 0x3f4a47b2, v65 :: v_dual_add_f32 v26, v26, v12
	;; [unrolled: 1-line block ×3, first 2 shown]
	v_dual_add_f32 v28, v28, v12 :: v_dual_fmamk_f32 v43, v43, 0xbf955555, v5
	v_fma_f32 v30, 0x3f5ff5aa, v70, -v30
	v_dual_add_f32 v68, v9, v6 :: v_dual_fmac_f32 v33, 0x3ee1c552, v32
	v_dual_fmamk_f32 v70, v15, 0xbf955555, v4 :: v_dual_add_f32 v9, v24, v27
	v_dual_fmac_f32 v46, 0x3ee1c552, v21 :: v_dual_add_f32 v7, v99, v52
	v_fma_f32 v42, 0x3f3bfb3b, v71, -v42
	v_dual_fmac_f32 v63, 0x3ee1c552, v21 :: v_dual_fmac_f32 v36, 0x3ee1c552, v32
	v_dual_fmamk_f32 v71, v51, 0x3eae86e6, v17 :: v_dual_fmamk_f32 v72, v77, 0x3eae86e6, v8
	v_dual_fmamk_f32 v65, v65, 0x3f4a47b2, v62 :: v_dual_add_f32 v6, v19, v64
	v_fma_f32 v76, 0xbeae86e6, v77, -v14
	v_fma_f32 v16, 0x3f5ff5aa, v16, -v8
	v_sub_f32_e32 v8, v26, v41
	v_add_f32_e32 v12, v31, v28
	v_dual_add_f32 v15, v35, v25 :: v_dual_sub_f32 v14, v28, v31
	v_add_f32_e32 v31, v29, v43
	v_dual_add_f32 v29, v22, v43 :: v_dual_fmac_f32 v30, 0x3ee1c552, v32
	v_fmac_f32_e32 v49, 0x3ee1c552, v21
	v_fmamk_f32 v54, v54, 0x3f4a47b2, v50
	v_fma_f32 v51, 0xbeae86e6, v51, -v13
	v_sub_f32_e32 v13, v25, v35
	v_fma_f32 v75, 0xbf3bfb3b, v74, -v20
	v_fma_f32 v53, 0xbf3bfb3b, v11, -v53
	;; [unrolled: 1-line block ×4, first 2 shown]
	v_dual_add_f32 v11, v34, v68 :: v_dual_sub_f32 v10, v69, v66
	v_sub_f32_e32 v17, v68, v34
	v_add_f32_e32 v34, v47, v70
	v_add_f32_e32 v32, v37, v70
	v_dual_add_f32 v35, v23, v70 :: v_dual_fmac_f32 v72, 0x3ee1c552, v67
	v_dual_fmamk_f32 v37, v52, 0xbf955555, v7 :: v_dual_add_f32 v22, v33, v31
	v_fma_f32 v50, 0x3f3bfb3b, v74, -v50
	v_dual_sub_f32 v20, v27, v24 :: v_dual_add_f32 v19, v41, v26
	v_dual_add_f32 v27, v42, v43 :: v_dual_add_f32 v24, v36, v29
	v_fmamk_f32 v41, v64, 0xbf955555, v6
	v_dual_fmac_f32 v71, 0x3ee1c552, v48 :: v_dual_fmac_f32 v76, 0x3ee1c552, v67
	v_dual_fmac_f32 v51, 0x3ee1c552, v48 :: v_dual_fmac_f32 v16, 0x3ee1c552, v67
	s_delay_alu instid0(VALU_DEP_4)
	v_dual_fmac_f32 v73, 0x3ee1c552, v48 :: v_dual_add_f32 v28, v30, v27
	v_dual_add_f32 v25, v49, v35 :: v_dual_add_f32 v48, v75, v37
	v_add_f32_e32 v43, v54, v37
	v_dual_sub_f32 v21, v34, v63 :: v_dual_sub_f32 v26, v27, v30
	v_sub_f32_e32 v30, v29, v36
	v_dual_add_f32 v29, v46, v32 :: v_dual_add_f32 v52, v65, v41
	v_add_f32_e32 v37, v50, v37
	v_dual_sub_f32 v23, v32, v46 :: v_dual_sub_f32 v32, v31, v33
	v_dual_add_f32 v31, v63, v34 :: v_dual_add_f32 v46, v62, v41
	v_sub_f32_e32 v27, v35, v49
	v_dual_add_f32 v36, v51, v48 :: v_dual_add_f32 v53, v53, v41
	v_add_f32_e32 v34, v71, v43
	v_sub_f32_e32 v49, v48, v51
	v_sub_f32_e32 v51, v43, v71
	v_add_co_u32 v43, vcc_lo, v0, v44
	v_add_f32_e32 v50, v72, v52
	v_dual_sub_f32 v33, v52, v72 :: v_dual_sub_f32 v42, v37, v73
	v_add_f32_e32 v47, v73, v37
	s_wait_alu 0xfffd
	v_add_co_ci_u32_e32 v44, vcc_lo, v1, v45, vcc_lo
	v_add_nc_u32_e32 v37, 0x2a0, v56
	v_add_nc_u32_e32 v45, 0x348, v56
	v_dual_sub_f32 v35, v53, v76 :: v_dual_add_f32 v48, v76, v53
	v_mad_co_u64_u32 v[52:53], null, s9, v61, v[18:19]
	s_delay_alu instid0(VALU_DEP_4) | instskip(NEXT) | instid1(VALU_DEP_4)
	v_mad_co_u64_u32 v[53:54], null, s8, v37, 0
	v_mad_co_u64_u32 v[61:62], null, s8, v45, 0
	v_dual_add_f32 v41, v16, v46 :: v_dual_sub_f32 v46, v46, v16
	v_mov_b32_e32 v16, v91
	s_clause 0x1
	global_store_b64 v[39:40], v[2:3], off
	global_store_b64 v[43:44], v[19:20], off
	v_dual_mov_b32 v2, v54 :: v_dual_mov_b32 v87, v52
	v_mov_b32_e32 v3, v62
	v_mad_co_u64_u32 v[63:64], null, s9, v60, v[16:17]
	v_add_f32_e32 v16, v66, v69
	s_delay_alu instid0(VALU_DEP_4) | instskip(NEXT) | instid1(VALU_DEP_4)
	v_lshlrev_b64_e32 v[18:19], 3, v[86:87]
	v_mad_co_u64_u32 v[39:40], null, s9, v37, v[2:3]
	v_add_nc_u32_e32 v37, 0x3f0, v56
	v_mov_b32_e32 v91, v63
	s_delay_alu instid0(VALU_DEP_4) | instskip(NEXT) | instid1(VALU_DEP_3)
	v_add_co_u32 v18, vcc_lo, v0, v18
	v_mad_co_u64_u32 v[63:64], null, s8, v37, 0
	s_delay_alu instid0(VALU_DEP_3) | instskip(SKIP_3) | instid1(VALU_DEP_4)
	v_lshlrev_b64_e32 v[43:44], 3, v[90:91]
	v_mov_b32_e32 v54, v39
	s_wait_alu 0xfffd
	v_add_co_ci_u32_e32 v19, vcc_lo, v1, v19, vcc_lo
	v_mov_b32_e32 v20, v64
	v_mad_co_u64_u32 v[2:3], null, s9, v45, v[3:4]
	v_lshlrev_b64_e32 v[39:40], 3, v[53:54]
	v_mad_co_u64_u32 v[52:53], null, s8, v58, 0
	s_delay_alu instid0(VALU_DEP_3) | instskip(SKIP_3) | instid1(VALU_DEP_3)
	v_mov_b32_e32 v62, v2
	v_add_co_u32 v2, vcc_lo, v0, v43
	s_wait_alu 0xfffd
	v_add_co_ci_u32_e32 v3, vcc_lo, v1, v44, vcc_lo
	v_lshlrev_b64_e32 v[43:44], 3, v[61:62]
	v_mad_co_u64_u32 v[60:61], null, s9, v37, v[20:21]
	v_mad_co_u64_u32 v[61:62], null, s8, v59, 0
	v_add_co_u32 v39, vcc_lo, v0, v39
	s_wait_alu 0xfffd
	v_add_co_ci_u32_e32 v40, vcc_lo, v1, v40, vcc_lo
	v_add_co_u32 v43, vcc_lo, v0, v43
	s_wait_alu 0xfffd
	v_add_co_ci_u32_e32 v44, vcc_lo, v1, v44, vcc_lo
	v_mov_b32_e32 v20, v53
	s_clause 0x3
	global_store_b64 v[18:19], v[16:17], off
	global_store_b64 v[2:3], v[14:15], off
	;; [unrolled: 1-line block ×4, first 2 shown]
	v_mad_co_u64_u32 v[11:12], null, s8, v38, 0
	v_mov_b32_e32 v37, v62
	v_mad_co_u64_u32 v[53:54], null, s9, v58, v[20:21]
	v_mov_b32_e32 v64, v60
	s_delay_alu instid0(VALU_DEP_3) | instskip(SKIP_1) | instid1(VALU_DEP_3)
	v_mad_co_u64_u32 v[58:59], null, s9, v59, v[37:38]
	v_mad_co_u64_u32 v[59:60], null, s8, v57, 0
	v_lshlrev_b64_e32 v[2:3], 3, v[63:64]
	v_lshlrev_b64_e32 v[13:14], 3, v[52:53]
	s_delay_alu instid0(VALU_DEP_4) | instskip(NEXT) | instid1(VALU_DEP_4)
	v_mov_b32_e32 v62, v58
	v_mov_b32_e32 v10, v60
	s_delay_alu instid0(VALU_DEP_4) | instskip(NEXT) | instid1(VALU_DEP_3)
	v_add_co_u32 v2, vcc_lo, v0, v2
	v_lshlrev_b64_e32 v[15:16], 3, v[61:62]
	s_wait_alu 0xfffd
	v_add_co_ci_u32_e32 v3, vcc_lo, v1, v3, vcc_lo
	v_mad_co_u64_u32 v[17:18], null, s9, v57, v[10:11]
	v_mov_b32_e32 v10, v12
	v_add_co_u32 v12, vcc_lo, v0, v13
	s_wait_alu 0xfffd
	v_add_co_ci_u32_e32 v13, vcc_lo, v1, v14, vcc_lo
	s_delay_alu instid0(VALU_DEP_3)
	v_mad_co_u64_u32 v[18:19], null, s9, v38, v[10:11]
	v_add_co_u32 v14, vcc_lo, v0, v15
	s_wait_alu 0xfffd
	v_add_co_ci_u32_e32 v15, vcc_lo, v1, v16, vcc_lo
	v_mov_b32_e32 v60, v17
	s_clause 0x1
	global_store_b64 v[2:3], v[8:9], off
	global_store_b64 v[12:13], v[6:7], off
	v_dual_mov_b32 v12, v18 :: v_dual_add_nc_u32 v13, 0x2d8, v56
	v_lshrrev_b32_e32 v8, 3, v55
	global_store_b64 v[14:15], v[50:51], off
	v_or_b32_e32 v15, 0x380, v56
	v_mad_co_u64_u32 v[6:7], null, s8, v13, 0
	v_lshlrev_b64_e32 v[2:3], 3, v[59:60]
	v_mul_hi_u32 v14, 0x18618619, v8
	v_lshlrev_b64_e32 v[8:9], 3, v[11:12]
	v_mad_co_u64_u32 v[10:11], null, s8, v15, 0
	s_delay_alu instid0(VALU_DEP_4) | instskip(NEXT) | instid1(VALU_DEP_3)
	v_add_co_u32 v2, vcc_lo, v0, v2
	v_mad_co_u64_u32 v[12:13], null, s9, v13, v[7:8]
	s_wait_alu 0xfffd
	v_add_co_ci_u32_e32 v3, vcc_lo, v1, v3, vcc_lo
	s_delay_alu instid0(VALU_DEP_4)
	v_dual_mov_b32 v7, v11 :: v_dual_add_nc_u32 v18, 0x428, v56
	v_lshrrev_b32_e32 v16, 1, v14
	v_add_co_u32 v8, vcc_lo, v0, v8
	global_store_b64 v[2:3], v[48:49], off
	s_wait_alu 0xfffd
	v_add_co_ci_u32_e32 v9, vcc_lo, v1, v9, vcc_lo
	v_mad_u32_u24 v19, 0x3f0, v16, v55
	v_mad_co_u64_u32 v[15:16], null, s9, v15, v[7:8]
	v_mov_b32_e32 v7, v12
	v_mad_co_u64_u32 v[13:14], null, s8, v18, 0
	s_delay_alu instid0(VALU_DEP_4) | instskip(NEXT) | instid1(VALU_DEP_3)
	v_mad_co_u64_u32 v[16:17], null, s8, v19, 0
	v_lshlrev_b64_e32 v[6:7], 3, v[6:7]
	v_mov_b32_e32 v11, v15
	v_add_nc_u32_e32 v15, 0xa8, v19
	global_store_b64 v[8:9], v[46:47], off
	v_mov_b32_e32 v2, v14
	v_lshlrev_b64_e32 v[8:9], 3, v[10:11]
	v_add_co_u32 v6, vcc_lo, v0, v6
	s_delay_alu instid0(VALU_DEP_3) | instskip(SKIP_3) | instid1(VALU_DEP_3)
	v_mad_co_u64_u32 v[2:3], null, s9, v18, v[2:3]
	v_mov_b32_e32 v3, v17
	s_wait_alu 0xfffd
	v_add_co_ci_u32_e32 v7, vcc_lo, v1, v7, vcc_lo
	v_mov_b32_e32 v14, v2
	s_delay_alu instid0(VALU_DEP_3)
	v_mad_co_u64_u32 v[10:11], null, s9, v19, v[3:4]
	v_mad_co_u64_u32 v[11:12], null, s8, v15, 0
	v_add_co_u32 v2, vcc_lo, v0, v8
	global_store_b64 v[6:7], v[41:42], off
	v_lshlrev_b64_e32 v[7:8], 3, v[13:14]
	s_wait_alu 0xfffd
	v_add_co_ci_u32_e32 v3, vcc_lo, v1, v9, vcc_lo
	v_dual_mov_b32 v6, v12 :: v_dual_mov_b32 v17, v10
	v_add_nc_u32_e32 v13, 0x150, v19
	global_store_b64 v[2:3], v[35:36], off
	v_mad_co_u64_u32 v[9:10], null, s9, v15, v[6:7]
	v_add_co_u32 v6, vcc_lo, v0, v7
	s_wait_alu 0xfffd
	v_add_co_ci_u32_e32 v7, vcc_lo, v1, v8, vcc_lo
	s_delay_alu instid0(VALU_DEP_3)
	v_dual_mov_b32 v12, v9 :: v_dual_add_nc_u32 v15, 0x2a0, v19
	v_lshlrev_b64_e32 v[2:3], 3, v[16:17]
	v_mad_co_u64_u32 v[8:9], null, s8, v13, 0
	global_store_b64 v[6:7], v[33:34], off
	v_add_nc_u32_e32 v17, 0x348, v19
	v_add_co_u32 v2, vcc_lo, v0, v2
	s_wait_alu 0xfffd
	v_add_co_ci_u32_e32 v3, vcc_lo, v1, v3, vcc_lo
	v_mov_b32_e32 v6, v9
	global_store_b64 v[2:3], v[4:5], off
	v_lshlrev_b64_e32 v[2:3], 3, v[11:12]
	v_mad_co_u64_u32 v[10:11], null, s8, v15, 0
	v_add_nc_u32_e32 v14, 0x1f8, v19
	v_mad_co_u64_u32 v[6:7], null, s9, v13, v[6:7]
	s_delay_alu instid0(VALU_DEP_4) | instskip(NEXT) | instid1(VALU_DEP_3)
	v_add_co_u32 v2, vcc_lo, v0, v2
	v_mad_co_u64_u32 v[4:5], null, s8, v14, 0
	s_wait_alu 0xfffd
	v_add_co_ci_u32_e32 v3, vcc_lo, v1, v3, vcc_lo
	s_delay_alu instid0(VALU_DEP_4)
	v_dual_mov_b32 v9, v6 :: v_dual_add_nc_u32 v18, 0x3f0, v19
	global_store_b64 v[2:3], v[31:32], off
	v_mad_co_u64_u32 v[12:13], null, s9, v14, v[5:6]
	v_mad_co_u64_u32 v[13:14], null, s8, v17, 0
	v_mov_b32_e32 v5, v11
	v_lshlrev_b64_e32 v[8:9], 3, v[8:9]
	s_delay_alu instid0(VALU_DEP_3) | instskip(NEXT) | instid1(VALU_DEP_3)
	v_mov_b32_e32 v2, v14
	v_mad_co_u64_u32 v[15:16], null, s9, v15, v[5:6]
	v_mad_co_u64_u32 v[6:7], null, s8, v18, 0
	v_mov_b32_e32 v5, v12
	s_delay_alu instid0(VALU_DEP_4) | instskip(SKIP_1) | instid1(VALU_DEP_3)
	v_mad_co_u64_u32 v[2:3], null, s9, v17, v[2:3]
	v_add_co_u32 v8, vcc_lo, v0, v8
	v_lshlrev_b64_e32 v[4:5], 3, v[4:5]
	v_mov_b32_e32 v3, v7
	v_mov_b32_e32 v11, v15
	s_wait_alu 0xfffd
	v_add_co_ci_u32_e32 v9, vcc_lo, v1, v9, vcc_lo
	v_mov_b32_e32 v14, v2
	v_mad_co_u64_u32 v[15:16], null, s9, v18, v[3:4]
	v_lshlrev_b64_e32 v[10:11], 3, v[10:11]
	v_add_co_u32 v2, vcc_lo, v0, v4
	s_wait_alu 0xfffd
	v_add_co_ci_u32_e32 v3, vcc_lo, v1, v5, vcc_lo
	v_lshlrev_b64_e32 v[4:5], 3, v[13:14]
	v_mov_b32_e32 v7, v15
	v_add_co_u32 v10, vcc_lo, v0, v10
	s_wait_alu 0xfffd
	v_add_co_ci_u32_e32 v11, vcc_lo, v1, v11, vcc_lo
	s_delay_alu instid0(VALU_DEP_3) | instskip(SKIP_3) | instid1(VALU_DEP_3)
	v_lshlrev_b64_e32 v[6:7], 3, v[6:7]
	v_add_co_u32 v4, vcc_lo, v0, v4
	s_wait_alu 0xfffd
	v_add_co_ci_u32_e32 v5, vcc_lo, v1, v5, vcc_lo
	v_add_co_u32 v0, vcc_lo, v0, v6
	s_wait_alu 0xfffd
	v_add_co_ci_u32_e32 v1, vcc_lo, v1, v7, vcc_lo
	s_clause 0x4
	global_store_b64 v[8:9], v[29:30], off
	global_store_b64 v[2:3], v[27:28], off
	;; [unrolled: 1-line block ×5, first 2 shown]
.LBB0_37:
	s_nop 0
	s_sendmsg sendmsg(MSG_DEALLOC_VGPRS)
	s_endpgm
	.section	.rodata,"a",@progbits
	.p2align	6, 0x0
	.amdhsa_kernel fft_rtc_fwd_len1176_factors_2_2_2_3_7_7_wgs_56_tpt_56_halfLds_sp_ip_CI_sbrr_dirReg
		.amdhsa_group_segment_fixed_size 0
		.amdhsa_private_segment_fixed_size 0
		.amdhsa_kernarg_size 88
		.amdhsa_user_sgpr_count 2
		.amdhsa_user_sgpr_dispatch_ptr 0
		.amdhsa_user_sgpr_queue_ptr 0
		.amdhsa_user_sgpr_kernarg_segment_ptr 1
		.amdhsa_user_sgpr_dispatch_id 0
		.amdhsa_user_sgpr_private_segment_size 0
		.amdhsa_wavefront_size32 1
		.amdhsa_uses_dynamic_stack 0
		.amdhsa_enable_private_segment 0
		.amdhsa_system_sgpr_workgroup_id_x 1
		.amdhsa_system_sgpr_workgroup_id_y 0
		.amdhsa_system_sgpr_workgroup_id_z 0
		.amdhsa_system_sgpr_workgroup_info 0
		.amdhsa_system_vgpr_workitem_id 0
		.amdhsa_next_free_vgpr 116
		.amdhsa_next_free_sgpr 35
		.amdhsa_reserve_vcc 1
		.amdhsa_float_round_mode_32 0
		.amdhsa_float_round_mode_16_64 0
		.amdhsa_float_denorm_mode_32 3
		.amdhsa_float_denorm_mode_16_64 3
		.amdhsa_fp16_overflow 0
		.amdhsa_workgroup_processor_mode 1
		.amdhsa_memory_ordered 1
		.amdhsa_forward_progress 0
		.amdhsa_round_robin_scheduling 0
		.amdhsa_exception_fp_ieee_invalid_op 0
		.amdhsa_exception_fp_denorm_src 0
		.amdhsa_exception_fp_ieee_div_zero 0
		.amdhsa_exception_fp_ieee_overflow 0
		.amdhsa_exception_fp_ieee_underflow 0
		.amdhsa_exception_fp_ieee_inexact 0
		.amdhsa_exception_int_div_zero 0
	.end_amdhsa_kernel
	.text
.Lfunc_end0:
	.size	fft_rtc_fwd_len1176_factors_2_2_2_3_7_7_wgs_56_tpt_56_halfLds_sp_ip_CI_sbrr_dirReg, .Lfunc_end0-fft_rtc_fwd_len1176_factors_2_2_2_3_7_7_wgs_56_tpt_56_halfLds_sp_ip_CI_sbrr_dirReg
                                        ; -- End function
	.section	.AMDGPU.csdata,"",@progbits
; Kernel info:
; codeLenInByte = 14792
; NumSgprs: 37
; NumVgprs: 116
; ScratchSize: 0
; MemoryBound: 0
; FloatMode: 240
; IeeeMode: 1
; LDSByteSize: 0 bytes/workgroup (compile time only)
; SGPRBlocks: 4
; VGPRBlocks: 14
; NumSGPRsForWavesPerEU: 37
; NumVGPRsForWavesPerEU: 116
; Occupancy: 12
; WaveLimiterHint : 1
; COMPUTE_PGM_RSRC2:SCRATCH_EN: 0
; COMPUTE_PGM_RSRC2:USER_SGPR: 2
; COMPUTE_PGM_RSRC2:TRAP_HANDLER: 0
; COMPUTE_PGM_RSRC2:TGID_X_EN: 1
; COMPUTE_PGM_RSRC2:TGID_Y_EN: 0
; COMPUTE_PGM_RSRC2:TGID_Z_EN: 0
; COMPUTE_PGM_RSRC2:TIDIG_COMP_CNT: 0
	.text
	.p2alignl 7, 3214868480
	.fill 96, 4, 3214868480
	.type	__hip_cuid_c2b59c180459d540,@object ; @__hip_cuid_c2b59c180459d540
	.section	.bss,"aw",@nobits
	.globl	__hip_cuid_c2b59c180459d540
__hip_cuid_c2b59c180459d540:
	.byte	0                               ; 0x0
	.size	__hip_cuid_c2b59c180459d540, 1

	.ident	"AMD clang version 19.0.0git (https://github.com/RadeonOpenCompute/llvm-project roc-6.4.0 25133 c7fe45cf4b819c5991fe208aaa96edf142730f1d)"
	.section	".note.GNU-stack","",@progbits
	.addrsig
	.addrsig_sym __hip_cuid_c2b59c180459d540
	.amdgpu_metadata
---
amdhsa.kernels:
  - .args:
      - .actual_access:  read_only
        .address_space:  global
        .offset:         0
        .size:           8
        .value_kind:     global_buffer
      - .offset:         8
        .size:           8
        .value_kind:     by_value
      - .actual_access:  read_only
        .address_space:  global
        .offset:         16
        .size:           8
        .value_kind:     global_buffer
      - .actual_access:  read_only
        .address_space:  global
        .offset:         24
        .size:           8
        .value_kind:     global_buffer
      - .offset:         32
        .size:           8
        .value_kind:     by_value
      - .actual_access:  read_only
        .address_space:  global
        .offset:         40
        .size:           8
        .value_kind:     global_buffer
      - .actual_access:  read_only
        .address_space:  global
        .offset:         48
        .size:           8
        .value_kind:     global_buffer
      - .offset:         56
        .size:           4
        .value_kind:     by_value
      - .actual_access:  read_only
        .address_space:  global
        .offset:         64
        .size:           8
        .value_kind:     global_buffer
      - .actual_access:  read_only
        .address_space:  global
        .offset:         72
        .size:           8
        .value_kind:     global_buffer
      - .address_space:  global
        .offset:         80
        .size:           8
        .value_kind:     global_buffer
    .group_segment_fixed_size: 0
    .kernarg_segment_align: 8
    .kernarg_segment_size: 88
    .language:       OpenCL C
    .language_version:
      - 2
      - 0
    .max_flat_workgroup_size: 56
    .name:           fft_rtc_fwd_len1176_factors_2_2_2_3_7_7_wgs_56_tpt_56_halfLds_sp_ip_CI_sbrr_dirReg
    .private_segment_fixed_size: 0
    .sgpr_count:     37
    .sgpr_spill_count: 0
    .symbol:         fft_rtc_fwd_len1176_factors_2_2_2_3_7_7_wgs_56_tpt_56_halfLds_sp_ip_CI_sbrr_dirReg.kd
    .uniform_work_group_size: 1
    .uses_dynamic_stack: false
    .vgpr_count:     116
    .vgpr_spill_count: 0
    .wavefront_size: 32
    .workgroup_processor_mode: 1
amdhsa.target:   amdgcn-amd-amdhsa--gfx1201
amdhsa.version:
  - 1
  - 2
...

	.end_amdgpu_metadata
